;; amdgpu-corpus repo=ROCm/aiter kind=harvested arch=n/a opt=n/a

/root/src/amdgpu-assembly/repos/ROCm__aiter/hsa/gfx950/fmoe_2stages/fmoe_stage1_bf16_pertokenFp8_doweight_g1u1_80x64_2tg_pf3.co:	file format elf64-amdgpu

Disassembly of section .text:

0000000000002a00 <_ZN5aiter56fmoe_stage1_bf16_pertokenFp8_doweight_g1u1_80x64_2tg_pf3E>:
	s_and_b32 s1, s1, 0xffff                                   // 000000002A00: 8601FF01 0000FFFF
	s_load_dwordx2 s[8:9], s[0:1], 0x0                         // 000000002A08: C0060200 00000000
	s_load_dwordx2 s[20:21], s[0:1], 0x10                      // 000000002A10: C0060500 00000010
	s_load_dwordx2 s[24:25], s[0:1], 0x20                      // 000000002A18: C0060600 00000020
	s_load_dwordx2 s[48:49], s[0:1], 0x30                      // 000000002A20: C0060C00 00000030
	s_load_dwordx2 s[28:29], s[0:1], 0x40                      // 000000002A28: C0060700 00000040
	s_load_dwordx2 s[32:33], s[0:1], 0x50                      // 000000002A30: C0060800 00000050
	s_load_dwordx2 s[36:37], s[0:1], 0x60                      // 000000002A38: C0060900 00000060
	s_load_dwordx2 s[12:13], s[0:1], 0x70                      // 000000002A40: C0060300 00000070
	s_load_dwordx2 s[44:45], s[0:1], 0x80                      // 000000002A48: C0060B00 00000080
	s_mov_b32 s89, 0                                           // 000000002A50: BED90080
	s_load_dword s64, s[0:1], 0x90                             // 000000002A54: C0021000 00000090
	s_load_dword s65, s[0:1], 0xa0                             // 000000002A5C: C0021040 000000A0
	s_load_dword s66, s[0:1], 0xb0                             // 000000002A64: C0021080 000000B0
	s_load_dword s67, s[0:1], 0xc0                             // 000000002A6C: C00210C0 000000C0
	s_load_dword s68, s[0:1], 0xd0                             // 000000002A74: C0021100 000000D0
	s_load_dword s69, s[0:1], 0xe0                             // 000000002A7C: C0021140 000000E0
	s_load_dword s71, s[0:1], 0xf0                             // 000000002A84: C00211C0 000000F0
	s_load_dword s72, s[0:1], 0x100                            // 000000002A8C: C0021200 00000100
	s_load_dword s74, s[0:1], 0x110                            // 000000002A94: C0021280 00000110
	s_load_dword s76, s[0:1], 0x120                            // 000000002A9C: C0021300 00000120
	s_load_dword s56, s[0:1], 0x130                            // 000000002AA4: C0020E00 00000130
	s_load_dword s88, s[0:1], 0x140                            // 000000002AAC: C0021600 00000140
	s_load_dword s89, s[0:1], 0x150                            // 000000002AB4: C0021640 00000150
	s_load_dwordx2 s[40:41], s[0:1], 0x160                     // 000000002ABC: C0060A00 00000160
	v_lshrrev_b32_e32 v1, 10, v0                               // 000000002AC4: 2002008A
	v_lshrrev_b32_e32 v2, 10, v1                               // 000000002AC8: 2004028A
	v_and_b32_e32 v2, 0x3ff, v2                                // 000000002ACC: 260404FF 000003FF
	v_and_b32_e32 v1, 0x3ff, v1                                // 000000002AD4: 260202FF 000003FF
	v_and_b32_e32 v0, 0x3ff, v0                                // 000000002ADC: 260000FF 000003FF
	v_lshrrev_b32_e32 v3, 6, v0                                // 000000002AE4: 20060086
	v_and_b32_e32 v0, 63, v0                                   // 000000002AE8: 260000BF
	s_mov_b32 s2, s2                                           // 000000002AEC: BE820002
	s_mov_b32 s3, s3                                           // 000000002AF0: BE830003
	s_mov_b32 s4, s4                                           // 000000002AF4: BE840004
	v_readfirstlane_b32 s7, v3                                 // 000000002AF8: 7E0E0503
	s_waitcnt lgkmcnt(0)                                       // 000000002AFC: BF8CC07F
	s_and_b32 s49, s49, 0xffff                                 // 000000002B00: 8631FF31 0000FFFF
	s_load_dword s48, s[48:49], 0x0                            // 000000002B08: C0020C18 00000000
	s_and_b32 s45, s45, 0xffff                                 // 000000002B10: 862DFF2D 0000FFFF
	s_and_b32 s9, s9, 0xffff                                   // 000000002B18: 8609FF09 0000FFFF
	s_mul_i32 s60, s66, s68                                    // 000000002B20: 923C4442
	s_mul_i32 s61, s66, 4                                      // 000000002B24: 923D8442
	s_mov_b32 s22, s60                                         // 000000002B28: BE96003C
	s_mov_b32 s26, -16                                         // 000000002B2C: BE9A00D0
	s_mov_b32 s30, s61                                         // 000000002B30: BE9E003D
	s_mov_b32 s14, 0x140                                       // 000000002B34: BE8E00FF 00000140
	s_mov_b32 s38, -16                                         // 000000002B3C: BEA600D0
	s_mov_b32 s10, -16                                         // 000000002B40: BE8A00D0
	s_mov_b32 s34, 0x100                                       // 000000002B44: BEA200FF 00000100
	s_mov_b32 s23, 0x20000                                     // 000000002B4C: BE9700FF 00020000
	s_mov_b32 s27, 0x20000                                     // 000000002B54: BE9B00FF 00020000
	s_mov_b32 s31, 0x20000                                     // 000000002B5C: BE9F00FF 00020000
	s_mov_b32 s35, 0x20000                                     // 000000002B64: BEA300FF 00020000
	s_mov_b32 s15, 0x20000                                     // 000000002B6C: BE8F00FF 00020000
	s_mov_b32 s39, 0x20000                                     // 000000002B74: BEA700FF 00020000
	s_mov_b32 s11, 0x20000                                     // 000000002B7C: BE8B00FF 00020000
	s_and_b32 s21, s21, 0xffff                                 // 000000002B84: 8615FF15 0000FFFF
	s_and_b32 s25, s25, 0xffff                                 // 000000002B8C: 8619FF19 0000FFFF
	s_and_b32 s29, s29, 0xffff                                 // 000000002B94: 861DFF1D 0000FFFF
	s_and_b32 s33, s33, 0xffff                                 // 000000002B9C: 8621FF21 0000FFFF
	s_and_b32 s13, s13, 0xffff                                 // 000000002BA4: 860DFF0D 0000FFFF
	s_and_b32 s37, s37, 0xffff                                 // 000000002BAC: 8625FF25 0000FFFF
	s_or_b32 s21, s21, 0x40000                                 // 000000002BB4: 8715FF15 00040000
	s_or_b32 s25, s25, 0x40000                                 // 000000002BBC: 8719FF19 00040000
	s_or_b32 s29, s29, 0x40000                                 // 000000002BC4: 871DFF1D 00040000
	s_or_b32 s33, s33, 0x40000                                 // 000000002BCC: 8721FF21 00040000
	s_or_b32 s13, s13, 0x40000                                 // 000000002BD4: 870DFF0D 00040000
	s_or_b32 s37, s37, 0x40000                                 // 000000002BDC: 8725FF25 00040000
	s_mov_b32 s42, -16                                         // 000000002BE4: BEAA00D0
	s_mov_b32 s43, 0x20000                                     // 000000002BE8: BEAB00FF 00020000
	s_and_b32 s41, s41, 0xffff                                 // 000000002BF0: 8629FF29 0000FFFF
	s_or_b32 s41, s41, 0x40000                                 // 000000002BF8: 8729FF29 00040000
	v_accvgpr_write_b32 a103, 0                                // 000000002C00: D3D94067 18000080
	v_mov_b32_e32 v108, 0                                      // 000000002C08: 7ED80280
	s_waitcnt lgkmcnt(0)                                       // 000000002C0C: BF8CC07F
	s_mul_i32 s60, s3, 0x50                                    // 000000002C10: 923CFF03 00000050
	s_cmp_lt_i32 s60, s48                                      // 000000002C18: BF04303C
	s_cbranch_scc0 label_1BDB                                  // 000000002C1C: BF841B50
	s_mov_b32 s80, 0                                           // 000000002C20: BED00080
	s_lshr_b32 s81, s64, s88                                   // 000000002C24: 8F515840
	s_mul_i32 s60, s3, 4                                       // 000000002C28: 923C8403
	s_add_u32 s44, s60, s44                                    // 000000002C2C: 802C2C3C
	s_addc_u32 s45, 0, s45                                     // 000000002C30: 822D2D80
	s_load_dword s5, s[44:45], 0x0                             // 000000002C34: C0020156 00000000
	s_mul_i32 s60, s3, 0x50                                    // 000000002C3C: 923CFF03 00000050
	s_mul_i32 s60, 4, s60                                      // 000000002C44: 923C3C84
	s_add_u32 s12, s60, s12                                    // 000000002C48: 800C0C3C
	s_addc_u32 s13, 0, s13                                     // 000000002C4C: 820D0D80
	v_and_b32_e32 v4, 15, v0                                   // 000000002C50: 2608008F
	v_lshlrev_b32_e32 v4, 2, v4                                // 000000002C54: 24080882
	buffer_load_dword v30, v4, s[12:15], 0 offen               // 000000002C58: E0501000 80031E04
	v_add_u32_e32 v4, 64, v4                                   // 000000002C60: 680808C0
	buffer_load_dword v31, v4, s[12:15], 0 offen               // 000000002C64: E0501000 80031F04
	v_add_u32_e32 v4, 64, v4                                   // 000000002C6C: 680808C0
	buffer_load_dword v32, v4, s[12:15], 0 offen               // 000000002C70: E0501000 80032004
	v_add_u32_e32 v4, 64, v4                                   // 000000002C78: 680808C0
	buffer_load_dword v33, v4, s[12:15], 0 offen               // 000000002C7C: E0501000 80032104
	v_add_u32_e32 v4, 64, v4                                   // 000000002C84: 680808C0
	buffer_load_dword v34, v4, s[12:15], 0 offen               // 000000002C88: E0501000 80032204
	v_add_u32_e32 v4, 64, v4                                   // 000000002C90: 680808C0
	s_mul_i32 s60, 4, s7                                       // 000000002C94: 923C0784
	v_lshlrev_b32_e32 v4, 4, v0                                // 000000002C98: 24080084
	v_add_u32_e32 v4, s60, v4                                  // 000000002C9C: 6808083C
	buffer_load_dword v3, v4, s[12:15], 0 offen                // 000000002CA0: E0501000 80030304
	v_mov_b32_e32 v64, 0                                       // 000000002CA8: 7E800280
	v_mov_b32_e32 v84, 0                                       // 000000002CAC: 7EA80280
	v_mov_b32_e32 v65, 0                                       // 000000002CB0: 7E820280
	v_mov_b32_e32 v85, 0                                       // 000000002CB4: 7EAA0280
	v_mov_b32_e32 v66, 0                                       // 000000002CB8: 7E840280
	v_mov_b32_e32 v86, 0                                       // 000000002CBC: 7EAC0280
	v_mov_b32_e32 v67, 0                                       // 000000002CC0: 7E860280
	v_mov_b32_e32 v87, 0                                       // 000000002CC4: 7EAE0280
	v_mov_b32_e32 v68, 0                                       // 000000002CC8: 7E880280
	v_mov_b32_e32 v88, 0                                       // 000000002CCC: 7EB00280
	v_mov_b32_e32 v69, 0                                       // 000000002CD0: 7E8A0280
	v_mov_b32_e32 v89, 0                                       // 000000002CD4: 7EB20280
	v_mov_b32_e32 v70, 0                                       // 000000002CD8: 7E8C0280
	v_mov_b32_e32 v90, 0                                       // 000000002CDC: 7EB40280
	v_mov_b32_e32 v71, 0                                       // 000000002CE0: 7E8E0280
	v_mov_b32_e32 v91, 0                                       // 000000002CE4: 7EB60280
	v_mov_b32_e32 v72, 0                                       // 000000002CE8: 7E900280
	v_mov_b32_e32 v92, 0                                       // 000000002CEC: 7EB80280
	v_mov_b32_e32 v73, 0                                       // 000000002CF0: 7E920280
	v_mov_b32_e32 v93, 0                                       // 000000002CF4: 7EBA0280
	v_mov_b32_e32 v74, 0                                       // 000000002CF8: 7E940280
	v_mov_b32_e32 v94, 0                                       // 000000002CFC: 7EBC0280
	v_mov_b32_e32 v75, 0                                       // 000000002D00: 7E960280
	v_mov_b32_e32 v95, 0                                       // 000000002D04: 7EBE0280
	v_mov_b32_e32 v76, 0                                       // 000000002D08: 7E980280
	v_mov_b32_e32 v96, 0                                       // 000000002D0C: 7EC00280
	v_mov_b32_e32 v77, 0                                       // 000000002D10: 7E9A0280
	v_mov_b32_e32 v97, 0                                       // 000000002D14: 7EC20280
	v_mov_b32_e32 v78, 0                                       // 000000002D18: 7E9C0280
	v_mov_b32_e32 v98, 0                                       // 000000002D1C: 7EC40280
	v_mov_b32_e32 v79, 0                                       // 000000002D20: 7E9E0280
	v_mov_b32_e32 v99, 0                                       // 000000002D24: 7EC60280
	v_mov_b32_e32 v80, 0                                       // 000000002D28: 7EA00280
	v_mov_b32_e32 v100, 0                                      // 000000002D2C: 7EC80280
	v_mov_b32_e32 v81, 0                                       // 000000002D30: 7EA20280
	v_mov_b32_e32 v101, 0                                      // 000000002D34: 7ECA0280
	v_mov_b32_e32 v82, 0                                       // 000000002D38: 7EA40280
	v_mov_b32_e32 v102, 0                                      // 000000002D3C: 7ECC0280
	v_mov_b32_e32 v83, 0                                       // 000000002D40: 7EA60280
	v_mov_b32_e32 v103, 0                                      // 000000002D44: 7ECE0280
	s_mul_i32 s60, s2, 0x80                                    // 000000002D48: 923CFF02 00000080
	s_cmp_eq_u32 s88, 0                                        // 000000002D50: BF068058
	s_cselect_b32 s61, 1, 2                                    // 000000002D54: 853D8281
	s_mul_i32 s60, s60, s61                                    // 000000002D58: 923C3D3C
	s_mov_b32 s90, s8                                          // 000000002D5C: BEDA0008
	s_mov_b32 s91, s9                                          // 000000002D60: BEDB0009
	s_add_u32 s8, s60, s8                                      // 000000002D64: 8008083C
	s_addc_u32 s9, 0, s9                                       // 000000002D68: 82090980
	v_lshrrev_b32_e32 v4, 4, v0                                // 000000002D6C: 20080084
	v_mul_lo_u32 v20, 34, v4                                   // 000000002D70: D2850014 000208A2
	v_and_b32_e32 v4, 15, v0                                   // 000000002D78: 2608008F
	v_mul_lo_u32 v5, 2, v4                                     // 000000002D7C: D2850005 00020882
	v_add_u32_e32 v20, v5, v20                                 // 000000002D84: 68282905
	s_mul_i32 s60, s7, 0x88                                    // 000000002D88: 923CFF07 00000088
	v_add_u32_e32 v20, s60, v20                                // 000000002D90: 6828283C
	v_lshlrev_b32_e32 v20, 2, v20                              // 000000002D94: 24282882
	v_and_b32_e32 v4, 31, v0                                   // 000000002D98: 2608009F
	v_lshrrev_b32_e32 v4, 1, v4                                // 000000002D9C: 20080881
	v_mul_lo_u32 v21, 34, v4                                   // 000000002DA0: D2850015 000208A2
	v_lshrrev_b32_e32 v4, 5, v0                                // 000000002DA8: 20080085
	v_mul_lo_u32 v4, 8, v4                                     // 000000002DAC: D2850004 00020888
	v_add_u32_e32 v21, v21, v4                                 // 000000002DB4: 682A0915
	v_and_b32_e32 v5, 1, v0                                    // 000000002DB8: 260A0081
	v_add_u32_e32 v21, v5, v21                                 // 000000002DBC: 682A2B05
	s_mul_i32 s60, s7, 2                                       // 000000002DC0: 923C8207
	v_add_u32_e32 v21, s60, v21                                // 000000002DC4: 682A2A3C
	v_lshlrev_b32_e32 v21, 2, v21                              // 000000002DC8: 242A2A82
	s_mul_i32 s60, s7, 0xa20                                   // 000000002DCC: 923CFF07 00000A20
	s_add_u32 s48, 0, s60                                      // 000000002DD4: 80303C80
	s_add_u32 s49, 0x2880, s48                                 // 000000002DD8: 803130FF 00002880
	s_add_u32 s50, 0x2880, s49                                 // 000000002DE0: 803231FF 00002880
	v_lshrrev_b32_e32 v4, 4, v0                                // 000000002DE8: 20080084
	v_lshlrev_b32_e32 v5, 2, v4                                // 000000002DEC: 240A0882
	v_and_b32_e32 v4, 15, v0                                   // 000000002DF0: 2608008F
	v_lshrrev_b32_e32 v6, 2, v4                                // 000000002DF4: 200C0882
	v_lshlrev_b32_e32 v6, 5, v6                                // 000000002DF8: 240C0C85
	v_add_u32_e32 v5, v6, v5                                   // 000000002DFC: 680A0B06
	v_and_b32_e32 v4, 3, v0                                    // 000000002E00: 26080083
	v_mul_u32_u24_e32 v6, 0x288, v4                            // 000000002E04: 100C08FF 00000288
	v_add_u32_e32 v5, v6, v5                                   // 000000002E0C: 680A0B06
	v_lshlrev_b32_e32 v2, 2, v5                                // 000000002E10: 24040A82
	s_waitcnt lgkmcnt(0)                                       // 000000002E14: BF8CC07F
	s_mul_i32 s60, s2, 64                                      // 000000002E18: 923CC002
	s_mul_i32 s60, s60, s69                                    // 000000002E1C: 923C453C
	s_mul_i32 s61, s5, s72                                     // 000000002E20: 923D4805
	s_add_u32 s60, s61, s60                                    // 000000002E24: 803C3C3D
	s_add_u32 s24, s60, s24                                    // 000000002E28: 8018183C
	s_addc_u32 s25, 0, s25                                     // 000000002E2C: 82191980
	s_lshr_b32 s60, s64, s88                                   // 000000002E30: 8F3C5840
	s_mul_i32 s60, s4, s60                                     // 000000002E34: 923C3C04
	s_lshr_b32 s60, s60, 7                                     // 000000002E38: 8F3C873C
	s_mul_i32 s60, s60, 0x800                                  // 000000002E3C: 923CFF3C 00000800
	s_add_u32 s24, s60, s24                                    // 000000002E44: 8018183C
	s_addc_u32 s25, 0, s25                                     // 000000002E48: 82191980
	s_lshr_b32 s60, s69, s88                                   // 000000002E4C: 8F3C5845
	s_mul_i32 s60, s4, s60                                     // 000000002E50: 923C3C04
	s_add_u32 s20, s60, s20                                    // 000000002E54: 8014143C
	s_addc_u32 s21, 0, s21                                     // 000000002E58: 82151580
	s_mul_i32 s60, s7, 16                                      // 000000002E5C: 923C9007
	s_mul_i32 s60, s60, s69                                    // 000000002E60: 923C453C
	v_lshlrev_b32_e32 v60, 4, v0                               // 000000002E64: 24780084
	v_add_u32_e32 v60, s60, v60                                // 000000002E68: 6878783C
	s_mul_i32 s60, 64, s69                                     // 000000002E6C: 923C45C0
	s_mov_b32 s84, s24                                         // 000000002E70: BED40018
	s_mov_b32 s85, s25                                         // 000000002E74: BED50019
	s_mov_b32 s86, s26                                         // 000000002E78: BED6001A
	s_mov_b32 s87, s27                                         // 000000002E7C: BED7001B
	s_mul_i32 s60, s69, s65                                    // 000000002E80: 923C4145
	s_add_u32 s84, s60, s84                                    // 000000002E84: 8054543C
	s_addc_u32 s85, 0, s85                                     // 000000002E88: 82555580
	v_lshrrev_b32_e32 v4, 4, v0                                // 000000002E8C: 20080084
	v_lshlrev_b32_e32 v5, 2, v4                                // 000000002E90: 240A0882
	v_and_b32_e32 v4, 15, v0                                   // 000000002E94: 2608008F
	v_lshrrev_b32_e32 v6, 2, v4                                // 000000002E98: 200C0882
	v_lshlrev_b32_e32 v6, 6, v6                                // 000000002E9C: 240C0C86
	v_add_u32_e32 v5, v6, v5                                   // 000000002EA0: 680A0B06
	v_and_b32_e32 v4, 3, v0                                    // 000000002EA4: 26080083
	v_add_u32_e32 v5, v4, v5                                   // 000000002EA8: 680A0B04
	v_lshlrev_b32_e32 v22, 2, v5                               // 000000002EAC: 242C0A82
	s_mul_i32 s60, s7, 16                                      // 000000002EB0: 923C9007
	s_mul_i32 s60, s60, 4                                      // 000000002EB4: 923C843C
	v_add_u32_e32 v22, s60, v22                                // 000000002EB8: 682C2C3C
	s_mul_i32 s60, s2, 64                                      // 000000002EBC: 923CC002
	s_mul_i32 s60, s60, 4                                      // 000000002EC0: 923C843C
	s_mul_i32 s61, s5, s74                                     // 000000002EC4: 923D4A05
	s_add_u32 s61, s61, s60                                    // 000000002EC8: 803D3C3D
	s_add_u32 s32, s61, s32                                    // 000000002ECC: 8020203D
	s_addc_u32 s33, 0, s33                                     // 000000002ED0: 82212180
	s_mov_b32 s57, 0x80                                        // 000000002ED4: BEB900FF 00000080
	s_mov_b32 s58, 0x800                                       // 000000002EDC: BEBA00FF 00000800
	s_mov_b32 s83, s58                                         // 000000002EE4: BED3003A
	s_mov_b32 s52, 0x7060302                                   // 000000002EE8: BEB400FF 07060302
	s_mov_b32 s53, 0x400                                       // 000000002EF0: BEB500FF 00000400
	s_mov_b32 s54, 0x40100                                     // 000000002EF8: BEB600FF 00040100
	s_mov_b32 s55, 0x4020100                                   // 000000002F00: BEB700FF 04020100
	s_mov_b32 s6, 0x3fb8aa3b                                   // 000000002F08: BE8600FF 3FB8AA3B
	s_mov_b32 s78, 0xbd92220c                                  // 000000002F10: BECE00FF BD92220C
	s_mov_b32 s79, 0xbd92220c                                  // 000000002F18: BECF00FF BD92220C
	s_mov_b32 m0, s48                                          // 000000002F20: BEFC0030
	v_mov_b32_e32 v1, 0xbfcc4231                               // 000000002F24: 7E0202FF BFCC4231
	v_mov_b32_e32 v17, 0xffff0000                              // 000000002F2C: 7E2202FF FFFF0000
	v_mov_b32_e32 v18, 0x7fff0000                              // 000000002F34: 7E2402FF 7FFF0000
	v_mov_b32_e32 v19, 0x7fff                                  // 000000002F3C: 7E2602FF 00007FFF
	s_waitcnt vmcnt(0) expcnt(0) lgkmcnt(0)                    // 000000002F44: BF8C0000
	s_mul_i32 s60, s3, 0x50                                    // 000000002F48: 923CFF03 00000050
	s_mul_i32 s60, 4, s60                                      // 000000002F50: 923C3C84
	s_add_u32 s40, s60, s40                                    // 000000002F54: 8028283C
	s_addc_u32 s41, 0, s41                                     // 000000002F58: 82292980
	v_and_b32_e32 v4, 15, v0                                   // 000000002F5C: 2608008F
	v_lshlrev_b32_e32 v4, 2, v4                                // 000000002F60: 24080882
	buffer_load_dword v104, v4, s[40:43], 0 offen              // 000000002F64: E0501000 800A6804
	buffer_load_dword v105, v4, s[40:43], 0 offen offset:64    // 000000002F6C: E0501040 800A6904
	buffer_load_dword v106, v4, s[40:43], 0 offen offset:128   // 000000002F74: E0501080 800A6A04
	buffer_load_dword v107, v4, s[40:43], 0 offen offset:192   // 000000002F7C: E05010C0 800A6B04
	buffer_load_dword v108, v4, s[40:43], 0 offen offset:256   // 000000002F84: E0501100 800A6C04
	v_lshrrev_b32_e32 v4, 5, v0                                // 000000002F8C: 20080085
	v_xor_b32_e32 v5, 1, v4                                    // 000000002F90: 2A0A0881
	v_readlane_b32 s82, v3, 0                                  // 000000002F94: D2890052 00010103
	s_and_b32 s82, s82, 0xffffff                               // 000000002F9C: 8652FF52 00FFFFFF
	v_mul_lo_u32 v6, v5, s82                                   // 000000002FA4: D2850006 0000A505
	v_readlane_b32 s82, v3, 1                                  // 000000002FAC: D2890052 00010303
	s_and_b32 s82, s82, 0xffffff                               // 000000002FB4: 8652FF52 00FFFFFF
	v_mul_lo_u32 v7, v4, s82                                   // 000000002FBC: D2850007 0000A504
	v_add_u32_e32 v50, v6, v7                                  // 000000002FC4: 68640F06
	v_mul_lo_u32 v50, v50, s68                                 // 000000002FC8: D2850032 00008932
	v_readlane_b32 s82, v3, 2                                  // 000000002FD0: D2890052 00010503
	s_and_b32 s82, s82, 0xffffff                               // 000000002FD8: 8652FF52 00FFFFFF
	v_mul_lo_u32 v6, v5, s82                                   // 000000002FE0: D2850006 0000A505
	v_readlane_b32 s82, v3, 3                                  // 000000002FE8: D2890052 00010703
	s_and_b32 s82, s82, 0xffffff                               // 000000002FF0: 8652FF52 00FFFFFF
	v_mul_lo_u32 v7, v4, s82                                   // 000000002FF8: D2850007 0000A504
	v_add_u32_e32 v51, v6, v7                                  // 000000003000: 68660F06
	v_mul_lo_u32 v51, v51, s68                                 // 000000003004: D2850033 00008933
	v_readlane_b32 s82, v3, 4                                  // 00000000300C: D2890052 00010903
	s_and_b32 s82, s82, 0xffffff                               // 000000003014: 8652FF52 00FFFFFF
	v_mul_lo_u32 v6, v5, s82                                   // 00000000301C: D2850006 0000A505
	v_readlane_b32 s82, v3, 5                                  // 000000003024: D2890052 00010B03
	s_and_b32 s82, s82, 0xffffff                               // 00000000302C: 8652FF52 00FFFFFF
	v_mul_lo_u32 v7, v4, s82                                   // 000000003034: D2850007 0000A504
	v_add_u32_e32 v52, v6, v7                                  // 00000000303C: 68680F06
	v_mul_lo_u32 v52, v52, s68                                 // 000000003040: D2850034 00008934
	v_readlane_b32 s82, v3, 6                                  // 000000003048: D2890052 00010D03
	s_and_b32 s82, s82, 0xffffff                               // 000000003050: 8652FF52 00FFFFFF
	v_mul_lo_u32 v6, v5, s82                                   // 000000003058: D2850006 0000A505
	v_readlane_b32 s82, v3, 7                                  // 000000003060: D2890052 00010F03
	s_and_b32 s82, s82, 0xffffff                               // 000000003068: 8652FF52 00FFFFFF
	v_mul_lo_u32 v7, v4, s82                                   // 000000003070: D2850007 0000A504
	v_add_u32_e32 v53, v6, v7                                  // 000000003078: 686A0F06
	v_mul_lo_u32 v53, v53, s68                                 // 00000000307C: D2850035 00008935
	v_readlane_b32 s82, v3, 8                                  // 000000003084: D2890052 00011103
	s_and_b32 s82, s82, 0xffffff                               // 00000000308C: 8652FF52 00FFFFFF
	v_mul_lo_u32 v6, v5, s82                                   // 000000003094: D2850006 0000A505
	v_readlane_b32 s82, v3, 9                                  // 00000000309C: D2890052 00011303
	s_and_b32 s82, s82, 0xffffff                               // 0000000030A4: 8652FF52 00FFFFFF
	v_mul_lo_u32 v7, v4, s82                                   // 0000000030AC: D2850007 0000A504
	v_add_u32_e32 v54, v6, v7                                  // 0000000030B4: 686C0F06
	v_mul_lo_u32 v54, v54, s68                                 // 0000000030B8: D2850036 00008936
	v_readlane_b32 s82, v3, 10                                 // 0000000030C0: D2890052 00011503
	s_and_b32 s82, s82, 0xffffff                               // 0000000030C8: 8652FF52 00FFFFFF
	v_mul_lo_u32 v6, v5, s82                                   // 0000000030D0: D2850006 0000A505
	v_readlane_b32 s82, v3, 11                                 // 0000000030D8: D2890052 00011703
	s_and_b32 s82, s82, 0xffffff                               // 0000000030E0: 8652FF52 00FFFFFF
	v_mul_lo_u32 v7, v4, s82                                   // 0000000030E8: D2850007 0000A504
	v_add_u32_e32 v55, v6, v7                                  // 0000000030F0: 686E0F06
	v_mul_lo_u32 v55, v55, s68                                 // 0000000030F4: D2850037 00008937
	v_readlane_b32 s82, v3, 12                                 // 0000000030FC: D2890052 00011903
	s_and_b32 s82, s82, 0xffffff                               // 000000003104: 8652FF52 00FFFFFF
	v_mul_lo_u32 v6, v5, s82                                   // 00000000310C: D2850006 0000A505
	v_readlane_b32 s82, v3, 13                                 // 000000003114: D2890052 00011B03
	s_and_b32 s82, s82, 0xffffff                               // 00000000311C: 8652FF52 00FFFFFF
	v_mul_lo_u32 v7, v4, s82                                   // 000000003124: D2850007 0000A504
	v_add_u32_e32 v56, v6, v7                                  // 00000000312C: 68700F06
	v_mul_lo_u32 v56, v56, s68                                 // 000000003130: D2850038 00008938
	v_readlane_b32 s82, v3, 14                                 // 000000003138: D2890052 00011D03
	s_and_b32 s82, s82, 0xffffff                               // 000000003140: 8652FF52 00FFFFFF
	v_mul_lo_u32 v6, v5, s82                                   // 000000003148: D2850006 0000A505
	v_readlane_b32 s82, v3, 15                                 // 000000003150: D2890052 00011F03
	s_and_b32 s82, s82, 0xffffff                               // 000000003158: 8652FF52 00FFFFFF
	v_mul_lo_u32 v7, v4, s82                                   // 000000003160: D2850007 0000A504
	v_add_u32_e32 v57, v6, v7                                  // 000000003168: 68720F06
	v_mul_lo_u32 v57, v57, s68                                 // 00000000316C: D2850039 00008939
	v_readlane_b32 s82, v3, 16                                 // 000000003174: D2890052 00012103
	s_and_b32 s82, s82, 0xffffff                               // 00000000317C: 8652FF52 00FFFFFF
	v_mul_lo_u32 v6, v5, s82                                   // 000000003184: D2850006 0000A505
	v_readlane_b32 s82, v3, 17                                 // 00000000318C: D2890052 00012303
	s_and_b32 s82, s82, 0xffffff                               // 000000003194: 8652FF52 00FFFFFF
	v_mul_lo_u32 v7, v4, s82                                   // 00000000319C: D2850007 0000A504
	v_add_u32_e32 v58, v6, v7                                  // 0000000031A4: 68740F06
	v_mul_lo_u32 v58, v58, s68                                 // 0000000031A8: D285003A 0000893A
	v_readlane_b32 s82, v3, 18                                 // 0000000031B0: D2890052 00012503
	s_and_b32 s82, s82, 0xffffff                               // 0000000031B8: 8652FF52 00FFFFFF
	v_mul_lo_u32 v6, v5, s82                                   // 0000000031C0: D2850006 0000A505
	v_readlane_b32 s82, v3, 19                                 // 0000000031C8: D2890052 00012703
	s_and_b32 s82, s82, 0xffffff                               // 0000000031D0: 8652FF52 00FFFFFF
	v_mul_lo_u32 v7, v4, s82                                   // 0000000031D8: D2850007 0000A504
	v_add_u32_e32 v59, v6, v7                                  // 0000000031E0: 68760F06
	v_mul_lo_u32 v59, v59, s68                                 // 0000000031E4: D285003B 0000893B
	v_and_b32_e32 v4, 31, v0                                   // 0000000031EC: 2608009F
	v_lshlrev_b32_e32 v4, 2, v4                                // 0000000031F0: 24080882
	v_add_u32_e32 v50, v50, v4                                 // 0000000031F4: 68640932
	v_add_u32_e32 v51, v51, v4                                 // 0000000031F8: 68660933
	v_add_u32_e32 v52, v52, v4                                 // 0000000031FC: 68680934
	v_add_u32_e32 v53, v53, v4                                 // 000000003200: 686A0935
	v_add_u32_e32 v54, v54, v4                                 // 000000003204: 686C0936
	v_add_u32_e32 v55, v55, v4                                 // 000000003208: 686E0937
	v_add_u32_e32 v56, v56, v4                                 // 00000000320C: 68700938
	v_add_u32_e32 v57, v57, v4                                 // 000000003210: 68720939
	v_add_u32_e32 v58, v58, v4                                 // 000000003214: 6874093A
	v_add_u32_e32 v59, v59, v4                                 // 000000003218: 6876093B
	v_and_b32_e32 v30, 0xffffff, v30                           // 00000000321C: 263C3CFF 00FFFFFF
	v_lshlrev_b32_e32 v30, 2, v30                              // 000000003224: 243C3C82
	v_and_b32_e32 v31, 0xffffff, v31                           // 000000003228: 263E3EFF 00FFFFFF
	v_lshlrev_b32_e32 v31, 2, v31                              // 000000003230: 243E3E82
	v_and_b32_e32 v32, 0xffffff, v32                           // 000000003234: 264040FF 00FFFFFF
	v_lshlrev_b32_e32 v32, 2, v32                              // 00000000323C: 24404082
	v_and_b32_e32 v33, 0xffffff, v33                           // 000000003240: 264242FF 00FFFFFF
	v_lshlrev_b32_e32 v33, 2, v33                              // 000000003248: 24424282
	v_and_b32_e32 v34, 0xffffff, v34                           // 00000000324C: 264444FF 00FFFFFF
	v_lshlrev_b32_e32 v34, 2, v34                              // 000000003254: 24444482
	s_lshl_b32 s3, s66, 2                                      // 000000003258: 8E038242
	buffer_load_dword v35, v30, s[28:31], 0 offen              // 00000000325C: E0501000 8007231E
	buffer_load_dword v36, v31, s[28:31], 0 offen              // 000000003264: E0501000 8007241F
	buffer_load_dword v37, v32, s[28:31], 0 offen              // 00000000326C: E0501000 80072520
	buffer_load_dword v38, v33, s[28:31], 0 offen              // 000000003274: E0501000 80072621
	buffer_load_dword v39, v34, s[28:31], 0 offen              // 00000000327C: E0501000 80072722
	buffer_load_dword v24, v22, s[32:35], 0 offen              // 000000003284: E0501000 80081816
	s_mul_i32 s60, 4, s65                                      // 00000000328C: 923C4184
	s_add_u32 s32, s60, s32                                    // 000000003290: 8020203C
	s_addc_u32 s33, 0, s33                                     // 000000003294: 82212180
	buffer_load_dword v27, v22, s[32:35], 0 offen              // 000000003298: E0501000 80081B16
	buffer_load_dword v50, s[20:23], 0 offen lds               // 0000000032A0: E0511000 80050032
	s_add_u32 m0, 0x100, s48                                   // 0000000032A8: 807C30FF 00000100
	buffer_load_dword v51, s[20:23], 0 offen lds               // 0000000032B0: E0511000 80050033
	s_add_u32 m0, 0x200, s48                                   // 0000000032B8: 807C30FF 00000200
	buffer_load_dword v52, s[20:23], 0 offen lds               // 0000000032C0: E0511000 80050034
	s_add_u32 m0, 0x300, s48                                   // 0000000032C8: 807C30FF 00000300
	buffer_load_dword v53, s[20:23], 0 offen lds               // 0000000032D0: E0511000 80050035
	s_add_u32 m0, 0x400, s48                                   // 0000000032D8: 807C30FF 00000400
	buffer_load_dword v54, s[20:23], 0 offen lds               // 0000000032E0: E0511000 80050036
	s_add_u32 m0, 0x500, s48                                   // 0000000032E8: 807C30FF 00000500
	buffer_load_dword v55, s[20:23], 0 offen lds               // 0000000032F0: E0511000 80050037
	s_add_u32 m0, 0x600, s48                                   // 0000000032F8: 807C30FF 00000600
	buffer_load_dword v56, s[20:23], 0 offen lds               // 000000003300: E0511000 80050038
	s_add_u32 m0, 0x700, s48                                   // 000000003308: 807C30FF 00000700
	buffer_load_dword v57, s[20:23], 0 offen lds               // 000000003310: E0511000 80050039
	s_add_u32 m0, 0x800, s48                                   // 000000003318: 807C30FF 00000800
	buffer_load_dword v58, s[20:23], 0 offen lds               // 000000003320: E0511000 8005003A
	s_add_u32 m0, 0x900, s48                                   // 000000003328: 807C30FF 00000900
	buffer_load_dword v59, s[20:23], 0 offen lds               // 000000003330: E0511000 8005003B
	s_add_u32 m0, 0, s49                                       // 000000003338: 807C3180
	s_add_u32 s20, s57, s20                                    // 00000000333C: 80141439
	s_addc_u32 s21, 0, s21                                     // 000000003340: 82151580
	buffer_load_dwordx4 a[80:83], v60, s[24:27], 0 offen       // 000000003344: E05C1000 8086503C
	buffer_load_dwordx4 a[84:87], v60, s[24:27], 0 offen offset:1024// 00000000334C: E05C1400 8086543C
	s_add_u32 s24, s58, s24                                    // 000000003354: 8018183A
	s_addc_u32 s25, 0, s25                                     // 000000003358: 82191980
	buffer_load_dword v50, s[20:23], 0 offen lds               // 00000000335C: E0511000 80050032
	s_add_u32 m0, 0x100, s49                                   // 000000003364: 807C31FF 00000100
	buffer_load_dword v51, s[20:23], 0 offen lds               // 00000000336C: E0511000 80050033
	s_add_u32 m0, 0x200, s49                                   // 000000003374: 807C31FF 00000200
	buffer_load_dword v52, s[20:23], 0 offen lds               // 00000000337C: E0511000 80050034
	s_add_u32 m0, 0x300, s49                                   // 000000003384: 807C31FF 00000300
	buffer_load_dword v53, s[20:23], 0 offen lds               // 00000000338C: E0511000 80050035
	s_add_u32 m0, 0x400, s49                                   // 000000003394: 807C31FF 00000400
	buffer_load_dword v54, s[20:23], 0 offen lds               // 00000000339C: E0511000 80050036
	s_add_u32 m0, 0x500, s49                                   // 0000000033A4: 807C31FF 00000500
	buffer_load_dword v55, s[20:23], 0 offen lds               // 0000000033AC: E0511000 80050037
	s_add_u32 m0, 0x600, s49                                   // 0000000033B4: 807C31FF 00000600
	buffer_load_dword v56, s[20:23], 0 offen lds               // 0000000033BC: E0511000 80050038
	s_add_u32 m0, 0x700, s49                                   // 0000000033C4: 807C31FF 00000700
	buffer_load_dword v57, s[20:23], 0 offen lds               // 0000000033CC: E0511000 80050039
	s_add_u32 m0, 0x800, s49                                   // 0000000033D4: 807C31FF 00000800
	buffer_load_dword v58, s[20:23], 0 offen lds               // 0000000033DC: E0511000 8005003A
	s_add_u32 m0, 0x900, s49                                   // 0000000033E4: 807C31FF 00000900
	buffer_load_dword v59, s[20:23], 0 offen lds               // 0000000033EC: E0511000 8005003B
	s_add_u32 m0, 0, s50                                       // 0000000033F4: 807C3280
	s_add_u32 s20, s57, s20                                    // 0000000033F8: 80141439
	s_addc_u32 s21, 0, s21                                     // 0000000033FC: 82151580
	buffer_load_dwordx4 a[88:91], v60, s[84:87], 0 offen       // 000000003400: E05C1000 8095583C
	buffer_load_dwordx4 a[92:95], v60, s[84:87], 0 offen offset:1024// 000000003408: E05C1400 80955C3C
	s_add_u32 s84, s83, s84                                    // 000000003410: 80545453
	s_addc_u32 s85, 0, s85                                     // 000000003414: 82555580
	s_waitcnt vmcnt(14)                                        // 000000003418: BF8C0F7E
	s_barrier                                                  // 00000000341C: BF8A0000
	ds_read_b128 a[0:3], v2                                    // 000000003420: DBFE0000 00000002
	ds_read_b128 a[4:7], v2 offset:64                          // 000000003428: DBFE0040 04000002
	ds_read_b128 a[8:11], v2 offset:512                        // 000000003430: DBFE0200 08000002
	ds_read_b128 a[12:15], v2 offset:576                       // 000000003438: DBFE0240 0C000002
	ds_read_b128 a[16:19], v2 offset:1024                      // 000000003440: DBFE0400 10000002
	ds_read_b128 a[20:23], v2 offset:1088                      // 000000003448: DBFE0440 14000002
	ds_read_b128 a[24:27], v2 offset:1536                      // 000000003450: DBFE0600 18000002
	ds_read_b128 a[28:31], v2 offset:1600                      // 000000003458: DBFE0640 1C000002
	ds_read_b128 a[32:35], v2 offset:2048                      // 000000003460: DBFE0800 20000002
	ds_read_b128 a[36:39], v2 offset:2112                      // 000000003468: DBFE0840 24000002
	s_cmp_lt_i32 s7, 2                                         // 000000003470: BF048207
	s_cbranch_scc0 label_0F3E                                  // 000000003474: BF840C9D

0000000000003478 <label_029E>:
	s_waitcnt vmcnt(12) lgkmcnt(0)                             // 000000003478: BF8C007C
	v_mfma_f32_16x16x32_fp8_fp8 v[64:67], a[80:81], a[0:1], v[64:67]// 00000000347C: D3F30040 1D020150
	v_mfma_f32_16x16x32_fp8_fp8 v[64:67], a[82:83], a[2:3], v[64:67]// 000000003484: D3F30040 1D020552
	buffer_load_dwordx4 a[96:99], v60, s[24:27], 0 offen       // 00000000348C: E05C1000 8086603C
	v_mfma_f32_16x16x32_fp8_fp8 v[64:67], a[84:85], a[4:5], v[64:67]// 000000003494: D3F30040 1D020954
	v_mfma_f32_16x16x32_fp8_fp8 v[64:67], a[86:87], a[6:7], v[64:67]// 00000000349C: D3F30040 1D020D56
	v_mfma_f32_16x16x32_fp8_fp8 v[68:71], a[80:81], a[8:9], v[68:71]// 0000000034A4: D3F30044 1D121150
	v_mfma_f32_16x16x32_fp8_fp8 v[68:71], a[82:83], a[10:11], v[68:71]// 0000000034AC: D3F30044 1D121552
	buffer_load_dwordx4 a[100:103], v60, s[24:27], 0 offen offset:1024// 0000000034B4: E05C1400 8086643C
	buffer_load_dword v50, s[20:23], 0 offen lds               // 0000000034BC: E0511000 80050032
	s_add_u32 m0, 0x100, s50                                   // 0000000034C4: 807C32FF 00000100
	v_mfma_f32_16x16x32_fp8_fp8 v[68:71], a[84:85], a[12:13], v[68:71]// 0000000034CC: D3F30044 1D121954
	v_mfma_f32_16x16x32_fp8_fp8 v[68:71], a[86:87], a[14:15], v[68:71]// 0000000034D4: D3F30044 1D121D56
	buffer_load_dword v51, s[20:23], 0 offen lds               // 0000000034DC: E0511000 80050033
	s_add_u32 m0, 0x200, s50                                   // 0000000034E4: 807C32FF 00000200
	v_mfma_f32_16x16x32_fp8_fp8 v[72:75], a[80:81], a[16:17], v[72:75]// 0000000034EC: D3F30048 1D222150
	v_mfma_f32_16x16x32_fp8_fp8 v[72:75], a[82:83], a[18:19], v[72:75]// 0000000034F4: D3F30048 1D222552
	buffer_load_dword v52, s[20:23], 0 offen lds               // 0000000034FC: E0511000 80050034
	s_add_u32 m0, 0x300, s50                                   // 000000003504: 807C32FF 00000300
	v_mfma_f32_16x16x32_fp8_fp8 v[72:75], a[84:85], a[20:21], v[72:75]// 00000000350C: D3F30048 1D222954
	v_mfma_f32_16x16x32_fp8_fp8 v[72:75], a[86:87], a[22:23], v[72:75]// 000000003514: D3F30048 1D222D56
	buffer_load_dword v53, s[20:23], 0 offen lds               // 00000000351C: E0511000 80050035
	s_add_u32 m0, 0x400, s50                                   // 000000003524: 807C32FF 00000400
	v_mfma_f32_16x16x32_fp8_fp8 v[76:79], a[80:81], a[24:25], v[76:79]// 00000000352C: D3F3004C 1D323150
	v_mfma_f32_16x16x32_fp8_fp8 v[76:79], a[82:83], a[26:27], v[76:79]// 000000003534: D3F3004C 1D323552
	buffer_load_dword v54, s[20:23], 0 offen lds               // 00000000353C: E0511000 80050036
	s_add_u32 m0, 0x500, s50                                   // 000000003544: 807C32FF 00000500
	v_mfma_f32_16x16x32_fp8_fp8 v[76:79], a[84:85], a[28:29], v[76:79]// 00000000354C: D3F3004C 1D323954
	v_mfma_f32_16x16x32_fp8_fp8 v[76:79], a[86:87], a[30:31], v[76:79]// 000000003554: D3F3004C 1D323D56
	buffer_load_dword v55, s[20:23], 0 offen lds               // 00000000355C: E0511000 80050037
	s_add_u32 m0, 0x600, s50                                   // 000000003564: 807C32FF 00000600
	v_mfma_f32_16x16x32_fp8_fp8 v[80:83], a[80:81], a[32:33], v[80:83]// 00000000356C: D3F30050 1D424150
	v_mfma_f32_16x16x32_fp8_fp8 v[80:83], a[82:83], a[34:35], v[80:83]// 000000003574: D3F30050 1D424552
	buffer_load_dword v56, s[20:23], 0 offen lds               // 00000000357C: E0511000 80050038
	s_add_u32 m0, 0x700, s50                                   // 000000003584: 807C32FF 00000700
	v_mfma_f32_16x16x32_fp8_fp8 v[80:83], a[84:85], a[36:37], v[80:83]// 00000000358C: D3F30050 1D424954
	v_mfma_f32_16x16x32_fp8_fp8 v[80:83], a[86:87], a[38:39], v[80:83]// 000000003594: D3F30050 1D424D56
	buffer_load_dword v57, s[20:23], 0 offen lds               // 00000000359C: E0511000 80050039
	s_add_u32 m0, 0x800, s50                                   // 0000000035A4: 807C32FF 00000800
	buffer_load_dword v58, s[20:23], 0 offen lds               // 0000000035AC: E0511000 8005003A
	s_add_u32 m0, 0x900, s50                                   // 0000000035B4: 807C32FF 00000900
	buffer_load_dword v59, s[20:23], 0 offen lds               // 0000000035BC: E0511000 8005003B
	s_add_u32 m0, 0, s48                                       // 0000000035C4: 807C3080
	s_waitcnt vmcnt(12)                                        // 0000000035C8: BF8C0F7C
	s_barrier                                                  // 0000000035CC: BF8A0000
	v_mfma_f32_16x16x32_fp8_fp8 v[84:87], a[88:89], a[0:1], v[84:87]// 0000000035D0: D3F30054 1D520158
	v_mfma_f32_16x16x32_fp8_fp8 v[84:87], a[90:91], a[2:3], v[84:87]// 0000000035D8: D3F30054 1D52055A
	buffer_load_dwordx4 a[80:83], v60, s[84:87], 0 offen       // 0000000035E0: E05C1000 8095503C
	v_mfma_f32_16x16x32_fp8_fp8 v[84:87], a[92:93], a[4:5], v[84:87]// 0000000035E8: D3F30054 1D52095C
	v_mfma_f32_16x16x32_fp8_fp8 v[84:87], a[94:95], a[6:7], v[84:87]// 0000000035F0: D3F30054 1D520D5E
	ds_read_b128 a[40:43], v2 offset:10368                     // 0000000035F8: DBFE2880 28000002
	ds_read_b128 a[44:47], v2 offset:10432                     // 000000003600: DBFE28C0 2C000002
	v_mfma_f32_16x16x32_fp8_fp8 v[88:91], a[88:89], a[8:9], v[88:91]// 000000003608: D3F30058 1D621158
	v_mfma_f32_16x16x32_fp8_fp8 v[88:91], a[90:91], a[10:11], v[88:91]// 000000003610: D3F30058 1D62155A
	buffer_load_dwordx4 a[84:87], v60, s[84:87], 0 offen offset:1024// 000000003618: E05C1400 8095543C
	v_mfma_f32_16x16x32_fp8_fp8 v[88:91], a[92:93], a[12:13], v[88:91]// 000000003620: D3F30058 1D62195C
	v_mfma_f32_16x16x32_fp8_fp8 v[88:91], a[94:95], a[14:15], v[88:91]// 000000003628: D3F30058 1D621D5E
	ds_read_b128 a[48:51], v2 offset:10880                     // 000000003630: DBFE2A80 30000002
	ds_read_b128 a[52:55], v2 offset:10944                     // 000000003638: DBFE2AC0 34000002
	v_mfma_f32_16x16x32_fp8_fp8 v[92:95], a[88:89], a[16:17], v[92:95]// 000000003640: D3F3005C 1D722158
	v_mfma_f32_16x16x32_fp8_fp8 v[92:95], a[90:91], a[18:19], v[92:95]// 000000003648: D3F3005C 1D72255A
	v_mfma_f32_16x16x32_fp8_fp8 v[92:95], a[92:93], a[20:21], v[92:95]// 000000003650: D3F3005C 1D72295C
	v_mfma_f32_16x16x32_fp8_fp8 v[92:95], a[94:95], a[22:23], v[92:95]// 000000003658: D3F3005C 1D722D5E
	ds_read_b128 a[56:59], v2 offset:11392                     // 000000003660: DBFE2C80 38000002
	ds_read_b128 a[60:63], v2 offset:11456                     // 000000003668: DBFE2CC0 3C000002
	v_mfma_f32_16x16x32_fp8_fp8 v[96:99], a[88:89], a[24:25], v[96:99]// 000000003670: D3F30060 1D823158
	s_add_u32 s60, 0x180, s80                                  // 000000003678: 803C50FF 00000180
	s_cmp_lt_u32 s60, s81                                      // 000000003680: BF0A513C
	s_cselect_b32 s57, s57, 0                                  // 000000003684: 85398039
	v_mfma_f32_16x16x32_fp8_fp8 v[96:99], a[90:91], a[26:27], v[96:99]// 000000003688: D3F30060 1D82355A
	s_add_u32 s60, 0x100, s80                                  // 000000003690: 803C50FF 00000100
	s_cmp_lt_u32 s60, s81                                      // 000000003698: BF0A513C
	s_cselect_b32 s58, s58, 0                                  // 00000000369C: 853A803A
	v_mfma_f32_16x16x32_fp8_fp8 v[96:99], a[92:93], a[28:29], v[96:99]// 0000000036A0: D3F30060 1D82395C
	s_add_u32 s60, 0x100, s80                                  // 0000000036A8: 803C50FF 00000100
	s_cmp_lt_u32 s60, s81                                      // 0000000036B0: BF0A513C
	s_cselect_b32 s83, s83, 0                                  // 0000000036B4: 85538053
	v_mfma_f32_16x16x32_fp8_fp8 v[96:99], a[94:95], a[30:31], v[96:99]// 0000000036B8: D3F30060 1D823D5E
	ds_read_b128 a[64:67], v2 offset:11904                     // 0000000036C0: DBFE2E80 40000002
	ds_read_b128 a[68:71], v2 offset:11968                     // 0000000036C8: DBFE2EC0 44000002
	s_add_u32 s24, s58, s24                                    // 0000000036D0: 8018183A
	s_addc_u32 s25, 0, s25                                     // 0000000036D4: 82191980
	v_mfma_f32_16x16x32_fp8_fp8 v[100:103], a[88:89], a[32:33], v[100:103]// 0000000036D8: D3F30064 1D924158
	s_add_u32 s20, s57, s20                                    // 0000000036E0: 80141439
	s_addc_u32 s21, 0, s21                                     // 0000000036E4: 82151580
	v_mfma_f32_16x16x32_fp8_fp8 v[100:103], a[90:91], a[34:35], v[100:103]// 0000000036E8: D3F30064 1D92455A
	s_add_u32 s84, s83, s84                                    // 0000000036F0: 80545453
	s_addc_u32 s85, 0, s85                                     // 0000000036F4: 82555580
	v_mfma_f32_16x16x32_fp8_fp8 v[100:103], a[92:93], a[36:37], v[100:103]// 0000000036F8: D3F30064 1D92495C
	v_mfma_f32_16x16x32_fp8_fp8 v[100:103], a[94:95], a[38:39], v[100:103]// 000000003700: D3F30064 1D924D5E
	ds_read_b128 a[72:75], v2 offset:12416                     // 000000003708: DBFE3080 48000002
	ds_read_b128 a[76:79], v2 offset:12480                     // 000000003710: DBFE30C0 4C000002
	s_addk_i32 s80, 0x80                                       // 000000003718: B7500080
	s_cmp_lt_i32 s80, s81                                      // 00000000371C: BF045150
	s_cbranch_scc0 label_06A1                                  // 000000003720: BF840358
	s_waitcnt vmcnt(12) lgkmcnt(0)                             // 000000003724: BF8C007C
	v_mfma_f32_16x16x32_fp8_fp8 v[64:67], a[96:97], a[40:41], v[64:67]// 000000003728: D3F30040 1D025160
	v_mfma_f32_16x16x32_fp8_fp8 v[64:67], a[98:99], a[42:43], v[64:67]// 000000003730: D3F30040 1D025562
	buffer_load_dwordx4 a[88:91], v60, s[24:27], 0 offen       // 000000003738: E05C1000 8086583C
	v_mfma_f32_16x16x32_fp8_fp8 v[64:67], a[100:101], a[44:45], v[64:67]// 000000003740: D3F30040 1D025964
	v_mfma_f32_16x16x32_fp8_fp8 v[64:67], a[102:103], a[46:47], v[64:67]// 000000003748: D3F30040 1D025D66
	v_mfma_f32_16x16x32_fp8_fp8 v[68:71], a[96:97], a[48:49], v[68:71]// 000000003750: D3F30044 1D126160
	v_mfma_f32_16x16x32_fp8_fp8 v[68:71], a[98:99], a[50:51], v[68:71]// 000000003758: D3F30044 1D126562
	buffer_load_dwordx4 a[92:95], v60, s[24:27], 0 offen offset:1024// 000000003760: E05C1400 80865C3C
	buffer_load_dword v50, s[20:23], 0 offen lds               // 000000003768: E0511000 80050032
	s_add_u32 m0, 0x100, s48                                   // 000000003770: 807C30FF 00000100
	v_mfma_f32_16x16x32_fp8_fp8 v[68:71], a[100:101], a[52:53], v[68:71]// 000000003778: D3F30044 1D126964
	v_mfma_f32_16x16x32_fp8_fp8 v[68:71], a[102:103], a[54:55], v[68:71]// 000000003780: D3F30044 1D126D66
	buffer_load_dword v51, s[20:23], 0 offen lds               // 000000003788: E0511000 80050033
	s_add_u32 m0, 0x200, s48                                   // 000000003790: 807C30FF 00000200
	v_mfma_f32_16x16x32_fp8_fp8 v[72:75], a[96:97], a[56:57], v[72:75]// 000000003798: D3F30048 1D227160
	v_mfma_f32_16x16x32_fp8_fp8 v[72:75], a[98:99], a[58:59], v[72:75]// 0000000037A0: D3F30048 1D227562
	buffer_load_dword v52, s[20:23], 0 offen lds               // 0000000037A8: E0511000 80050034
	s_add_u32 m0, 0x300, s48                                   // 0000000037B0: 807C30FF 00000300
	v_mfma_f32_16x16x32_fp8_fp8 v[72:75], a[100:101], a[60:61], v[72:75]// 0000000037B8: D3F30048 1D227964
	v_mfma_f32_16x16x32_fp8_fp8 v[72:75], a[102:103], a[62:63], v[72:75]// 0000000037C0: D3F30048 1D227D66
	buffer_load_dword v53, s[20:23], 0 offen lds               // 0000000037C8: E0511000 80050035
	s_add_u32 m0, 0x400, s48                                   // 0000000037D0: 807C30FF 00000400
	v_mfma_f32_16x16x32_fp8_fp8 v[76:79], a[96:97], a[64:65], v[76:79]// 0000000037D8: D3F3004C 1D328160
	v_mfma_f32_16x16x32_fp8_fp8 v[76:79], a[98:99], a[66:67], v[76:79]// 0000000037E0: D3F3004C 1D328562
	buffer_load_dword v54, s[20:23], 0 offen lds               // 0000000037E8: E0511000 80050036
	s_add_u32 m0, 0x500, s48                                   // 0000000037F0: 807C30FF 00000500
	v_mfma_f32_16x16x32_fp8_fp8 v[76:79], a[100:101], a[68:69], v[76:79]// 0000000037F8: D3F3004C 1D328964
	v_mfma_f32_16x16x32_fp8_fp8 v[76:79], a[102:103], a[70:71], v[76:79]// 000000003800: D3F3004C 1D328D66
	buffer_load_dword v55, s[20:23], 0 offen lds               // 000000003808: E0511000 80050037
	s_add_u32 m0, 0x600, s48                                   // 000000003810: 807C30FF 00000600
	v_mfma_f32_16x16x32_fp8_fp8 v[80:83], a[96:97], a[72:73], v[80:83]// 000000003818: D3F30050 1D429160
	v_mfma_f32_16x16x32_fp8_fp8 v[80:83], a[98:99], a[74:75], v[80:83]// 000000003820: D3F30050 1D429562
	buffer_load_dword v56, s[20:23], 0 offen lds               // 000000003828: E0511000 80050038
	s_add_u32 m0, 0x700, s48                                   // 000000003830: 807C30FF 00000700
	v_mfma_f32_16x16x32_fp8_fp8 v[80:83], a[100:101], a[76:77], v[80:83]// 000000003838: D3F30050 1D429964
	v_mfma_f32_16x16x32_fp8_fp8 v[80:83], a[102:103], a[78:79], v[80:83]// 000000003840: D3F30050 1D429D66
	buffer_load_dword v57, s[20:23], 0 offen lds               // 000000003848: E0511000 80050039
	s_add_u32 m0, 0x800, s48                                   // 000000003850: 807C30FF 00000800
	buffer_load_dword v58, s[20:23], 0 offen lds               // 000000003858: E0511000 8005003A
	s_add_u32 m0, 0x900, s48                                   // 000000003860: 807C30FF 00000900
	buffer_load_dword v59, s[20:23], 0 offen lds               // 000000003868: E0511000 8005003B
	s_add_u32 m0, 0, s49                                       // 000000003870: 807C3180
	s_waitcnt vmcnt(12)                                        // 000000003874: BF8C0F7C
	s_barrier                                                  // 000000003878: BF8A0000
	v_mfma_f32_16x16x32_fp8_fp8 v[84:87], a[80:81], a[40:41], v[84:87]// 00000000387C: D3F30054 1D525150
	v_mfma_f32_16x16x32_fp8_fp8 v[84:87], a[82:83], a[42:43], v[84:87]// 000000003884: D3F30054 1D525552
	buffer_load_dwordx4 a[96:99], v60, s[84:87], 0 offen       // 00000000388C: E05C1000 8095603C
	v_mfma_f32_16x16x32_fp8_fp8 v[84:87], a[84:85], a[44:45], v[84:87]// 000000003894: D3F30054 1D525954
	v_mfma_f32_16x16x32_fp8_fp8 v[84:87], a[86:87], a[46:47], v[84:87]// 00000000389C: D3F30054 1D525D56
	ds_read_b128 a[0:3], v2 offset:20736                       // 0000000038A4: DBFE5100 00000002
	ds_read_b128 a[4:7], v2 offset:20800                       // 0000000038AC: DBFE5140 04000002
	v_mfma_f32_16x16x32_fp8_fp8 v[88:91], a[80:81], a[48:49], v[88:91]// 0000000038B4: D3F30058 1D626150
	v_mfma_f32_16x16x32_fp8_fp8 v[88:91], a[82:83], a[50:51], v[88:91]// 0000000038BC: D3F30058 1D626552
	buffer_load_dwordx4 a[100:103], v60, s[84:87], 0 offen offset:1024// 0000000038C4: E05C1400 8095643C
	v_mfma_f32_16x16x32_fp8_fp8 v[88:91], a[84:85], a[52:53], v[88:91]// 0000000038CC: D3F30058 1D626954
	v_mfma_f32_16x16x32_fp8_fp8 v[88:91], a[86:87], a[54:55], v[88:91]// 0000000038D4: D3F30058 1D626D56
	ds_read_b128 a[8:11], v2 offset:21248                      // 0000000038DC: DBFE5300 08000002
	ds_read_b128 a[12:15], v2 offset:21312                     // 0000000038E4: DBFE5340 0C000002
	v_mfma_f32_16x16x32_fp8_fp8 v[92:95], a[80:81], a[56:57], v[92:95]// 0000000038EC: D3F3005C 1D727150
	v_mfma_f32_16x16x32_fp8_fp8 v[92:95], a[82:83], a[58:59], v[92:95]// 0000000038F4: D3F3005C 1D727552
	v_mfma_f32_16x16x32_fp8_fp8 v[92:95], a[84:85], a[60:61], v[92:95]// 0000000038FC: D3F3005C 1D727954
	v_mfma_f32_16x16x32_fp8_fp8 v[92:95], a[86:87], a[62:63], v[92:95]// 000000003904: D3F3005C 1D727D56
	ds_read_b128 a[16:19], v2 offset:21760                     // 00000000390C: DBFE5500 10000002
	ds_read_b128 a[20:23], v2 offset:21824                     // 000000003914: DBFE5540 14000002
	v_mfma_f32_16x16x32_fp8_fp8 v[96:99], a[80:81], a[64:65], v[96:99]// 00000000391C: D3F30060 1D828150
	s_add_u32 s60, 0x180, s80                                  // 000000003924: 803C50FF 00000180
	s_cmp_lt_u32 s60, s81                                      // 00000000392C: BF0A513C
	s_cselect_b32 s57, s57, 0                                  // 000000003930: 85398039
	v_mfma_f32_16x16x32_fp8_fp8 v[96:99], a[82:83], a[66:67], v[96:99]// 000000003934: D3F30060 1D828552
	s_add_u32 s60, 0x100, s80                                  // 00000000393C: 803C50FF 00000100
	s_cmp_lt_u32 s60, s81                                      // 000000003944: BF0A513C
	s_cselect_b32 s58, s58, 0                                  // 000000003948: 853A803A
	v_mfma_f32_16x16x32_fp8_fp8 v[96:99], a[84:85], a[68:69], v[96:99]// 00000000394C: D3F30060 1D828954
	s_add_u32 s60, 0x100, s80                                  // 000000003954: 803C50FF 00000100
	s_cmp_lt_u32 s60, s81                                      // 00000000395C: BF0A513C
	s_cselect_b32 s83, s83, 0                                  // 000000003960: 85538053
	v_mfma_f32_16x16x32_fp8_fp8 v[96:99], a[86:87], a[70:71], v[96:99]// 000000003964: D3F30060 1D828D56
	ds_read_b128 a[24:27], v2 offset:22272                     // 00000000396C: DBFE5700 18000002
	ds_read_b128 a[28:31], v2 offset:22336                     // 000000003974: DBFE5740 1C000002
	s_add_u32 s24, s58, s24                                    // 00000000397C: 8018183A
	s_addc_u32 s25, 0, s25                                     // 000000003980: 82191980
	v_mfma_f32_16x16x32_fp8_fp8 v[100:103], a[80:81], a[72:73], v[100:103]// 000000003984: D3F30064 1D929150
	s_add_u32 s20, s57, s20                                    // 00000000398C: 80141439
	s_addc_u32 s21, 0, s21                                     // 000000003990: 82151580
	v_mfma_f32_16x16x32_fp8_fp8 v[100:103], a[82:83], a[74:75], v[100:103]// 000000003994: D3F30064 1D929552
	s_add_u32 s84, s83, s84                                    // 00000000399C: 80545453
	s_addc_u32 s85, 0, s85                                     // 0000000039A0: 82555580
	v_mfma_f32_16x16x32_fp8_fp8 v[100:103], a[84:85], a[76:77], v[100:103]// 0000000039A4: D3F30064 1D929954
	v_mfma_f32_16x16x32_fp8_fp8 v[100:103], a[86:87], a[78:79], v[100:103]// 0000000039AC: D3F30064 1D929D56
	ds_read_b128 a[32:35], v2 offset:22784                     // 0000000039B4: DBFE5900 20000002
	ds_read_b128 a[36:39], v2 offset:22848                     // 0000000039BC: DBFE5940 24000002
	s_addk_i32 s80, 0x80                                       // 0000000039C4: B7500080
	s_cmp_lt_i32 s80, s81                                      // 0000000039C8: BF045150
	s_cbranch_scc0 label_06A1                                  // 0000000039CC: BF8402AD
	s_waitcnt vmcnt(12) lgkmcnt(0)                             // 0000000039D0: BF8C007C
	v_mfma_f32_16x16x32_fp8_fp8 v[64:67], a[88:89], a[0:1], v[64:67]// 0000000039D4: D3F30040 1D020158
	v_mfma_f32_16x16x32_fp8_fp8 v[64:67], a[90:91], a[2:3], v[64:67]// 0000000039DC: D3F30040 1D02055A
	buffer_load_dwordx4 a[80:83], v60, s[24:27], 0 offen       // 0000000039E4: E05C1000 8086503C
	v_mfma_f32_16x16x32_fp8_fp8 v[64:67], a[92:93], a[4:5], v[64:67]// 0000000039EC: D3F30040 1D02095C
	v_mfma_f32_16x16x32_fp8_fp8 v[64:67], a[94:95], a[6:7], v[64:67]// 0000000039F4: D3F30040 1D020D5E
	v_mfma_f32_16x16x32_fp8_fp8 v[68:71], a[88:89], a[8:9], v[68:71]// 0000000039FC: D3F30044 1D121158
	v_mfma_f32_16x16x32_fp8_fp8 v[68:71], a[90:91], a[10:11], v[68:71]// 000000003A04: D3F30044 1D12155A
	buffer_load_dwordx4 a[84:87], v60, s[24:27], 0 offen offset:1024// 000000003A0C: E05C1400 8086543C
	buffer_load_dword v50, s[20:23], 0 offen lds               // 000000003A14: E0511000 80050032
	s_add_u32 m0, 0x100, s49                                   // 000000003A1C: 807C31FF 00000100
	v_mfma_f32_16x16x32_fp8_fp8 v[68:71], a[92:93], a[12:13], v[68:71]// 000000003A24: D3F30044 1D12195C
	v_mfma_f32_16x16x32_fp8_fp8 v[68:71], a[94:95], a[14:15], v[68:71]// 000000003A2C: D3F30044 1D121D5E
	buffer_load_dword v51, s[20:23], 0 offen lds               // 000000003A34: E0511000 80050033
	s_add_u32 m0, 0x200, s49                                   // 000000003A3C: 807C31FF 00000200
	v_mfma_f32_16x16x32_fp8_fp8 v[72:75], a[88:89], a[16:17], v[72:75]// 000000003A44: D3F30048 1D222158
	v_mfma_f32_16x16x32_fp8_fp8 v[72:75], a[90:91], a[18:19], v[72:75]// 000000003A4C: D3F30048 1D22255A
	buffer_load_dword v52, s[20:23], 0 offen lds               // 000000003A54: E0511000 80050034
	s_add_u32 m0, 0x300, s49                                   // 000000003A5C: 807C31FF 00000300
	v_mfma_f32_16x16x32_fp8_fp8 v[72:75], a[92:93], a[20:21], v[72:75]// 000000003A64: D3F30048 1D22295C
	v_mfma_f32_16x16x32_fp8_fp8 v[72:75], a[94:95], a[22:23], v[72:75]// 000000003A6C: D3F30048 1D222D5E
	buffer_load_dword v53, s[20:23], 0 offen lds               // 000000003A74: E0511000 80050035
	s_add_u32 m0, 0x400, s49                                   // 000000003A7C: 807C31FF 00000400
	v_mfma_f32_16x16x32_fp8_fp8 v[76:79], a[88:89], a[24:25], v[76:79]// 000000003A84: D3F3004C 1D323158
	v_mfma_f32_16x16x32_fp8_fp8 v[76:79], a[90:91], a[26:27], v[76:79]// 000000003A8C: D3F3004C 1D32355A
	buffer_load_dword v54, s[20:23], 0 offen lds               // 000000003A94: E0511000 80050036
	s_add_u32 m0, 0x500, s49                                   // 000000003A9C: 807C31FF 00000500
	v_mfma_f32_16x16x32_fp8_fp8 v[76:79], a[92:93], a[28:29], v[76:79]// 000000003AA4: D3F3004C 1D32395C
	v_mfma_f32_16x16x32_fp8_fp8 v[76:79], a[94:95], a[30:31], v[76:79]// 000000003AAC: D3F3004C 1D323D5E
	buffer_load_dword v55, s[20:23], 0 offen lds               // 000000003AB4: E0511000 80050037
	s_add_u32 m0, 0x600, s49                                   // 000000003ABC: 807C31FF 00000600
	v_mfma_f32_16x16x32_fp8_fp8 v[80:83], a[88:89], a[32:33], v[80:83]// 000000003AC4: D3F30050 1D424158
	v_mfma_f32_16x16x32_fp8_fp8 v[80:83], a[90:91], a[34:35], v[80:83]// 000000003ACC: D3F30050 1D42455A
	buffer_load_dword v56, s[20:23], 0 offen lds               // 000000003AD4: E0511000 80050038
	s_add_u32 m0, 0x700, s49                                   // 000000003ADC: 807C31FF 00000700
	v_mfma_f32_16x16x32_fp8_fp8 v[80:83], a[92:93], a[36:37], v[80:83]// 000000003AE4: D3F30050 1D42495C
	v_mfma_f32_16x16x32_fp8_fp8 v[80:83], a[94:95], a[38:39], v[80:83]// 000000003AEC: D3F30050 1D424D5E
	buffer_load_dword v57, s[20:23], 0 offen lds               // 000000003AF4: E0511000 80050039
	s_add_u32 m0, 0x800, s49                                   // 000000003AFC: 807C31FF 00000800
	buffer_load_dword v58, s[20:23], 0 offen lds               // 000000003B04: E0511000 8005003A
	s_add_u32 m0, 0x900, s49                                   // 000000003B0C: 807C31FF 00000900
	buffer_load_dword v59, s[20:23], 0 offen lds               // 000000003B14: E0511000 8005003B
	s_add_u32 m0, 0, s50                                       // 000000003B1C: 807C3280
	s_waitcnt vmcnt(12)                                        // 000000003B20: BF8C0F7C
	s_barrier                                                  // 000000003B24: BF8A0000
	v_mfma_f32_16x16x32_fp8_fp8 v[84:87], a[96:97], a[0:1], v[84:87]// 000000003B28: D3F30054 1D520160
	v_mfma_f32_16x16x32_fp8_fp8 v[84:87], a[98:99], a[2:3], v[84:87]// 000000003B30: D3F30054 1D520562
	buffer_load_dwordx4 a[88:91], v60, s[84:87], 0 offen       // 000000003B38: E05C1000 8095583C
	v_mfma_f32_16x16x32_fp8_fp8 v[84:87], a[100:101], a[4:5], v[84:87]// 000000003B40: D3F30054 1D520964
	v_mfma_f32_16x16x32_fp8_fp8 v[84:87], a[102:103], a[6:7], v[84:87]// 000000003B48: D3F30054 1D520D66
	ds_read_b128 a[40:43], v2                                  // 000000003B50: DBFE0000 28000002
	ds_read_b128 a[44:47], v2 offset:64                        // 000000003B58: DBFE0040 2C000002
	v_mfma_f32_16x16x32_fp8_fp8 v[88:91], a[96:97], a[8:9], v[88:91]// 000000003B60: D3F30058 1D621160
	v_mfma_f32_16x16x32_fp8_fp8 v[88:91], a[98:99], a[10:11], v[88:91]// 000000003B68: D3F30058 1D621562
	buffer_load_dwordx4 a[92:95], v60, s[84:87], 0 offen offset:1024// 000000003B70: E05C1400 80955C3C
	v_mfma_f32_16x16x32_fp8_fp8 v[88:91], a[100:101], a[12:13], v[88:91]// 000000003B78: D3F30058 1D621964
	v_mfma_f32_16x16x32_fp8_fp8 v[88:91], a[102:103], a[14:15], v[88:91]// 000000003B80: D3F30058 1D621D66
	ds_read_b128 a[48:51], v2 offset:512                       // 000000003B88: DBFE0200 30000002
	ds_read_b128 a[52:55], v2 offset:576                       // 000000003B90: DBFE0240 34000002
	v_mfma_f32_16x16x32_fp8_fp8 v[92:95], a[96:97], a[16:17], v[92:95]// 000000003B98: D3F3005C 1D722160
	v_mfma_f32_16x16x32_fp8_fp8 v[92:95], a[98:99], a[18:19], v[92:95]// 000000003BA0: D3F3005C 1D722562
	v_mfma_f32_16x16x32_fp8_fp8 v[92:95], a[100:101], a[20:21], v[92:95]// 000000003BA8: D3F3005C 1D722964
	v_mfma_f32_16x16x32_fp8_fp8 v[92:95], a[102:103], a[22:23], v[92:95]// 000000003BB0: D3F3005C 1D722D66
	ds_read_b128 a[56:59], v2 offset:1024                      // 000000003BB8: DBFE0400 38000002
	ds_read_b128 a[60:63], v2 offset:1088                      // 000000003BC0: DBFE0440 3C000002
	v_mfma_f32_16x16x32_fp8_fp8 v[96:99], a[96:97], a[24:25], v[96:99]// 000000003BC8: D3F30060 1D823160
	s_add_u32 s60, 0x180, s80                                  // 000000003BD0: 803C50FF 00000180
	s_cmp_lt_u32 s60, s81                                      // 000000003BD8: BF0A513C
	s_cselect_b32 s57, s57, 0                                  // 000000003BDC: 85398039
	v_mfma_f32_16x16x32_fp8_fp8 v[96:99], a[98:99], a[26:27], v[96:99]// 000000003BE0: D3F30060 1D823562
	s_add_u32 s60, 0x100, s80                                  // 000000003BE8: 803C50FF 00000100
	s_cmp_lt_u32 s60, s81                                      // 000000003BF0: BF0A513C
	s_cselect_b32 s58, s58, 0                                  // 000000003BF4: 853A803A
	v_mfma_f32_16x16x32_fp8_fp8 v[96:99], a[100:101], a[28:29], v[96:99]// 000000003BF8: D3F30060 1D823964
	s_add_u32 s60, 0x100, s80                                  // 000000003C00: 803C50FF 00000100
	s_cmp_lt_u32 s60, s81                                      // 000000003C08: BF0A513C
	s_cselect_b32 s83, s83, 0                                  // 000000003C0C: 85538053
	v_mfma_f32_16x16x32_fp8_fp8 v[96:99], a[102:103], a[30:31], v[96:99]// 000000003C10: D3F30060 1D823D66
	ds_read_b128 a[64:67], v2 offset:1536                      // 000000003C18: DBFE0600 40000002
	ds_read_b128 a[68:71], v2 offset:1600                      // 000000003C20: DBFE0640 44000002
	s_add_u32 s24, s58, s24                                    // 000000003C28: 8018183A
	s_addc_u32 s25, 0, s25                                     // 000000003C2C: 82191980
	v_mfma_f32_16x16x32_fp8_fp8 v[100:103], a[96:97], a[32:33], v[100:103]// 000000003C30: D3F30064 1D924160
	s_add_u32 s20, s57, s20                                    // 000000003C38: 80141439
	s_addc_u32 s21, 0, s21                                     // 000000003C3C: 82151580
	v_mfma_f32_16x16x32_fp8_fp8 v[100:103], a[98:99], a[34:35], v[100:103]// 000000003C40: D3F30064 1D924562
	s_add_u32 s84, s83, s84                                    // 000000003C48: 80545453
	s_addc_u32 s85, 0, s85                                     // 000000003C4C: 82555580
	v_mfma_f32_16x16x32_fp8_fp8 v[100:103], a[100:101], a[36:37], v[100:103]// 000000003C50: D3F30064 1D924964
	v_mfma_f32_16x16x32_fp8_fp8 v[100:103], a[102:103], a[38:39], v[100:103]// 000000003C58: D3F30064 1D924D66
	ds_read_b128 a[72:75], v2 offset:2048                      // 000000003C60: DBFE0800 48000002
	ds_read_b128 a[76:79], v2 offset:2112                      // 000000003C68: DBFE0840 4C000002
	s_addk_i32 s80, 0x80                                       // 000000003C70: B7500080
	s_cmp_lt_i32 s80, s81                                      // 000000003C74: BF045150
	s_cbranch_scc0 label_06A1                                  // 000000003C78: BF840202
	s_waitcnt vmcnt(12) lgkmcnt(0)                             // 000000003C7C: BF8C007C
	v_mfma_f32_16x16x32_fp8_fp8 v[64:67], a[80:81], a[40:41], v[64:67]// 000000003C80: D3F30040 1D025150
	v_mfma_f32_16x16x32_fp8_fp8 v[64:67], a[82:83], a[42:43], v[64:67]// 000000003C88: D3F30040 1D025552
	buffer_load_dwordx4 a[96:99], v60, s[24:27], 0 offen       // 000000003C90: E05C1000 8086603C
	v_mfma_f32_16x16x32_fp8_fp8 v[64:67], a[84:85], a[44:45], v[64:67]// 000000003C98: D3F30040 1D025954
	v_mfma_f32_16x16x32_fp8_fp8 v[64:67], a[86:87], a[46:47], v[64:67]// 000000003CA0: D3F30040 1D025D56
	v_mfma_f32_16x16x32_fp8_fp8 v[68:71], a[80:81], a[48:49], v[68:71]// 000000003CA8: D3F30044 1D126150
	v_mfma_f32_16x16x32_fp8_fp8 v[68:71], a[82:83], a[50:51], v[68:71]// 000000003CB0: D3F30044 1D126552
	buffer_load_dwordx4 a[100:103], v60, s[24:27], 0 offen offset:1024// 000000003CB8: E05C1400 8086643C
	buffer_load_dword v50, s[20:23], 0 offen lds               // 000000003CC0: E0511000 80050032
	s_add_u32 m0, 0x100, s50                                   // 000000003CC8: 807C32FF 00000100
	v_mfma_f32_16x16x32_fp8_fp8 v[68:71], a[84:85], a[52:53], v[68:71]// 000000003CD0: D3F30044 1D126954
	v_mfma_f32_16x16x32_fp8_fp8 v[68:71], a[86:87], a[54:55], v[68:71]// 000000003CD8: D3F30044 1D126D56
	buffer_load_dword v51, s[20:23], 0 offen lds               // 000000003CE0: E0511000 80050033
	s_add_u32 m0, 0x200, s50                                   // 000000003CE8: 807C32FF 00000200
	v_mfma_f32_16x16x32_fp8_fp8 v[72:75], a[80:81], a[56:57], v[72:75]// 000000003CF0: D3F30048 1D227150
	v_mfma_f32_16x16x32_fp8_fp8 v[72:75], a[82:83], a[58:59], v[72:75]// 000000003CF8: D3F30048 1D227552
	buffer_load_dword v52, s[20:23], 0 offen lds               // 000000003D00: E0511000 80050034
	s_add_u32 m0, 0x300, s50                                   // 000000003D08: 807C32FF 00000300
	v_mfma_f32_16x16x32_fp8_fp8 v[72:75], a[84:85], a[60:61], v[72:75]// 000000003D10: D3F30048 1D227954
	v_mfma_f32_16x16x32_fp8_fp8 v[72:75], a[86:87], a[62:63], v[72:75]// 000000003D18: D3F30048 1D227D56
	buffer_load_dword v53, s[20:23], 0 offen lds               // 000000003D20: E0511000 80050035
	s_add_u32 m0, 0x400, s50                                   // 000000003D28: 807C32FF 00000400
	v_mfma_f32_16x16x32_fp8_fp8 v[76:79], a[80:81], a[64:65], v[76:79]// 000000003D30: D3F3004C 1D328150
	v_mfma_f32_16x16x32_fp8_fp8 v[76:79], a[82:83], a[66:67], v[76:79]// 000000003D38: D3F3004C 1D328552
	buffer_load_dword v54, s[20:23], 0 offen lds               // 000000003D40: E0511000 80050036
	s_add_u32 m0, 0x500, s50                                   // 000000003D48: 807C32FF 00000500
	v_mfma_f32_16x16x32_fp8_fp8 v[76:79], a[84:85], a[68:69], v[76:79]// 000000003D50: D3F3004C 1D328954
	v_mfma_f32_16x16x32_fp8_fp8 v[76:79], a[86:87], a[70:71], v[76:79]// 000000003D58: D3F3004C 1D328D56
	buffer_load_dword v55, s[20:23], 0 offen lds               // 000000003D60: E0511000 80050037
	s_add_u32 m0, 0x600, s50                                   // 000000003D68: 807C32FF 00000600
	v_mfma_f32_16x16x32_fp8_fp8 v[80:83], a[80:81], a[72:73], v[80:83]// 000000003D70: D3F30050 1D429150
	v_mfma_f32_16x16x32_fp8_fp8 v[80:83], a[82:83], a[74:75], v[80:83]// 000000003D78: D3F30050 1D429552
	buffer_load_dword v56, s[20:23], 0 offen lds               // 000000003D80: E0511000 80050038
	s_add_u32 m0, 0x700, s50                                   // 000000003D88: 807C32FF 00000700
	v_mfma_f32_16x16x32_fp8_fp8 v[80:83], a[84:85], a[76:77], v[80:83]// 000000003D90: D3F30050 1D429954
	v_mfma_f32_16x16x32_fp8_fp8 v[80:83], a[86:87], a[78:79], v[80:83]// 000000003D98: D3F30050 1D429D56
	buffer_load_dword v57, s[20:23], 0 offen lds               // 000000003DA0: E0511000 80050039
	s_add_u32 m0, 0x800, s50                                   // 000000003DA8: 807C32FF 00000800
	buffer_load_dword v58, s[20:23], 0 offen lds               // 000000003DB0: E0511000 8005003A
	s_add_u32 m0, 0x900, s50                                   // 000000003DB8: 807C32FF 00000900
	buffer_load_dword v59, s[20:23], 0 offen lds               // 000000003DC0: E0511000 8005003B
	s_add_u32 m0, 0, s48                                       // 000000003DC8: 807C3080
	s_waitcnt vmcnt(12)                                        // 000000003DCC: BF8C0F7C
	s_barrier                                                  // 000000003DD0: BF8A0000
	v_mfma_f32_16x16x32_fp8_fp8 v[84:87], a[88:89], a[40:41], v[84:87]// 000000003DD4: D3F30054 1D525158
	v_mfma_f32_16x16x32_fp8_fp8 v[84:87], a[90:91], a[42:43], v[84:87]// 000000003DDC: D3F30054 1D52555A
	buffer_load_dwordx4 a[80:83], v60, s[84:87], 0 offen       // 000000003DE4: E05C1000 8095503C
	v_mfma_f32_16x16x32_fp8_fp8 v[84:87], a[92:93], a[44:45], v[84:87]// 000000003DEC: D3F30054 1D52595C
	v_mfma_f32_16x16x32_fp8_fp8 v[84:87], a[94:95], a[46:47], v[84:87]// 000000003DF4: D3F30054 1D525D5E
	ds_read_b128 a[0:3], v2 offset:10368                       // 000000003DFC: DBFE2880 00000002
	ds_read_b128 a[4:7], v2 offset:10432                       // 000000003E04: DBFE28C0 04000002
	v_mfma_f32_16x16x32_fp8_fp8 v[88:91], a[88:89], a[48:49], v[88:91]// 000000003E0C: D3F30058 1D626158
	v_mfma_f32_16x16x32_fp8_fp8 v[88:91], a[90:91], a[50:51], v[88:91]// 000000003E14: D3F30058 1D62655A
	buffer_load_dwordx4 a[84:87], v60, s[84:87], 0 offen offset:1024// 000000003E1C: E05C1400 8095543C
	v_mfma_f32_16x16x32_fp8_fp8 v[88:91], a[92:93], a[52:53], v[88:91]// 000000003E24: D3F30058 1D62695C
	v_mfma_f32_16x16x32_fp8_fp8 v[88:91], a[94:95], a[54:55], v[88:91]// 000000003E2C: D3F30058 1D626D5E
	ds_read_b128 a[8:11], v2 offset:10880                      // 000000003E34: DBFE2A80 08000002
	ds_read_b128 a[12:15], v2 offset:10944                     // 000000003E3C: DBFE2AC0 0C000002
	v_mfma_f32_16x16x32_fp8_fp8 v[92:95], a[88:89], a[56:57], v[92:95]// 000000003E44: D3F3005C 1D727158
	v_mfma_f32_16x16x32_fp8_fp8 v[92:95], a[90:91], a[58:59], v[92:95]// 000000003E4C: D3F3005C 1D72755A
	v_mfma_f32_16x16x32_fp8_fp8 v[92:95], a[92:93], a[60:61], v[92:95]// 000000003E54: D3F3005C 1D72795C
	v_mfma_f32_16x16x32_fp8_fp8 v[92:95], a[94:95], a[62:63], v[92:95]// 000000003E5C: D3F3005C 1D727D5E
	ds_read_b128 a[16:19], v2 offset:11392                     // 000000003E64: DBFE2C80 10000002
	ds_read_b128 a[20:23], v2 offset:11456                     // 000000003E6C: DBFE2CC0 14000002
	v_mfma_f32_16x16x32_fp8_fp8 v[96:99], a[88:89], a[64:65], v[96:99]// 000000003E74: D3F30060 1D828158
	s_add_u32 s60, 0x180, s80                                  // 000000003E7C: 803C50FF 00000180
	s_cmp_lt_u32 s60, s81                                      // 000000003E84: BF0A513C
	s_cselect_b32 s57, s57, 0                                  // 000000003E88: 85398039
	v_mfma_f32_16x16x32_fp8_fp8 v[96:99], a[90:91], a[66:67], v[96:99]// 000000003E8C: D3F30060 1D82855A
	s_add_u32 s60, 0x100, s80                                  // 000000003E94: 803C50FF 00000100
	s_cmp_lt_u32 s60, s81                                      // 000000003E9C: BF0A513C
	s_cselect_b32 s58, s58, 0                                  // 000000003EA0: 853A803A
	v_mfma_f32_16x16x32_fp8_fp8 v[96:99], a[92:93], a[68:69], v[96:99]// 000000003EA4: D3F30060 1D82895C
	s_add_u32 s60, 0x100, s80                                  // 000000003EAC: 803C50FF 00000100
	s_cmp_lt_u32 s60, s81                                      // 000000003EB4: BF0A513C
	s_cselect_b32 s83, s83, 0                                  // 000000003EB8: 85538053
	v_mfma_f32_16x16x32_fp8_fp8 v[96:99], a[94:95], a[70:71], v[96:99]// 000000003EBC: D3F30060 1D828D5E
	ds_read_b128 a[24:27], v2 offset:11904                     // 000000003EC4: DBFE2E80 18000002
	ds_read_b128 a[28:31], v2 offset:11968                     // 000000003ECC: DBFE2EC0 1C000002
	s_add_u32 s24, s58, s24                                    // 000000003ED4: 8018183A
	s_addc_u32 s25, 0, s25                                     // 000000003ED8: 82191980
	v_mfma_f32_16x16x32_fp8_fp8 v[100:103], a[88:89], a[72:73], v[100:103]// 000000003EDC: D3F30064 1D929158
	s_add_u32 s20, s57, s20                                    // 000000003EE4: 80141439
	s_addc_u32 s21, 0, s21                                     // 000000003EE8: 82151580
	v_mfma_f32_16x16x32_fp8_fp8 v[100:103], a[90:91], a[74:75], v[100:103]// 000000003EEC: D3F30064 1D92955A
	s_add_u32 s84, s83, s84                                    // 000000003EF4: 80545453
	s_addc_u32 s85, 0, s85                                     // 000000003EF8: 82555580
	v_mfma_f32_16x16x32_fp8_fp8 v[100:103], a[92:93], a[76:77], v[100:103]// 000000003EFC: D3F30064 1D92995C
	v_mfma_f32_16x16x32_fp8_fp8 v[100:103], a[94:95], a[78:79], v[100:103]// 000000003F04: D3F30064 1D929D5E
	ds_read_b128 a[32:35], v2 offset:12416                     // 000000003F0C: DBFE3080 20000002
	ds_read_b128 a[36:39], v2 offset:12480                     // 000000003F14: DBFE30C0 24000002
	s_addk_i32 s80, 0x80                                       // 000000003F1C: B7500080
	s_cmp_lt_i32 s80, s81                                      // 000000003F20: BF045150
	s_cbranch_scc0 label_06A1                                  // 000000003F24: BF840157
	s_waitcnt vmcnt(12) lgkmcnt(0)                             // 000000003F28: BF8C007C
	v_mfma_f32_16x16x32_fp8_fp8 v[64:67], a[96:97], a[0:1], v[64:67]// 000000003F2C: D3F30040 1D020160
	v_mfma_f32_16x16x32_fp8_fp8 v[64:67], a[98:99], a[2:3], v[64:67]// 000000003F34: D3F30040 1D020562
	buffer_load_dwordx4 a[88:91], v60, s[24:27], 0 offen       // 000000003F3C: E05C1000 8086583C
	v_mfma_f32_16x16x32_fp8_fp8 v[64:67], a[100:101], a[4:5], v[64:67]// 000000003F44: D3F30040 1D020964
	v_mfma_f32_16x16x32_fp8_fp8 v[64:67], a[102:103], a[6:7], v[64:67]// 000000003F4C: D3F30040 1D020D66
	v_mfma_f32_16x16x32_fp8_fp8 v[68:71], a[96:97], a[8:9], v[68:71]// 000000003F54: D3F30044 1D121160
	v_mfma_f32_16x16x32_fp8_fp8 v[68:71], a[98:99], a[10:11], v[68:71]// 000000003F5C: D3F30044 1D121562
	buffer_load_dwordx4 a[92:95], v60, s[24:27], 0 offen offset:1024// 000000003F64: E05C1400 80865C3C
	buffer_load_dword v50, s[20:23], 0 offen lds               // 000000003F6C: E0511000 80050032
	s_add_u32 m0, 0x100, s48                                   // 000000003F74: 807C30FF 00000100
	v_mfma_f32_16x16x32_fp8_fp8 v[68:71], a[100:101], a[12:13], v[68:71]// 000000003F7C: D3F30044 1D121964
	v_mfma_f32_16x16x32_fp8_fp8 v[68:71], a[102:103], a[14:15], v[68:71]// 000000003F84: D3F30044 1D121D66
	buffer_load_dword v51, s[20:23], 0 offen lds               // 000000003F8C: E0511000 80050033
	s_add_u32 m0, 0x200, s48                                   // 000000003F94: 807C30FF 00000200
	v_mfma_f32_16x16x32_fp8_fp8 v[72:75], a[96:97], a[16:17], v[72:75]// 000000003F9C: D3F30048 1D222160
	v_mfma_f32_16x16x32_fp8_fp8 v[72:75], a[98:99], a[18:19], v[72:75]// 000000003FA4: D3F30048 1D222562
	buffer_load_dword v52, s[20:23], 0 offen lds               // 000000003FAC: E0511000 80050034
	s_add_u32 m0, 0x300, s48                                   // 000000003FB4: 807C30FF 00000300
	v_mfma_f32_16x16x32_fp8_fp8 v[72:75], a[100:101], a[20:21], v[72:75]// 000000003FBC: D3F30048 1D222964
	v_mfma_f32_16x16x32_fp8_fp8 v[72:75], a[102:103], a[22:23], v[72:75]// 000000003FC4: D3F30048 1D222D66
	buffer_load_dword v53, s[20:23], 0 offen lds               // 000000003FCC: E0511000 80050035
	s_add_u32 m0, 0x400, s48                                   // 000000003FD4: 807C30FF 00000400
	v_mfma_f32_16x16x32_fp8_fp8 v[76:79], a[96:97], a[24:25], v[76:79]// 000000003FDC: D3F3004C 1D323160
	v_mfma_f32_16x16x32_fp8_fp8 v[76:79], a[98:99], a[26:27], v[76:79]// 000000003FE4: D3F3004C 1D323562
	buffer_load_dword v54, s[20:23], 0 offen lds               // 000000003FEC: E0511000 80050036
	s_add_u32 m0, 0x500, s48                                   // 000000003FF4: 807C30FF 00000500
	v_mfma_f32_16x16x32_fp8_fp8 v[76:79], a[100:101], a[28:29], v[76:79]// 000000003FFC: D3F3004C 1D323964
	v_mfma_f32_16x16x32_fp8_fp8 v[76:79], a[102:103], a[30:31], v[76:79]// 000000004004: D3F3004C 1D323D66
	buffer_load_dword v55, s[20:23], 0 offen lds               // 00000000400C: E0511000 80050037
	s_add_u32 m0, 0x600, s48                                   // 000000004014: 807C30FF 00000600
	v_mfma_f32_16x16x32_fp8_fp8 v[80:83], a[96:97], a[32:33], v[80:83]// 00000000401C: D3F30050 1D424160
	v_mfma_f32_16x16x32_fp8_fp8 v[80:83], a[98:99], a[34:35], v[80:83]// 000000004024: D3F30050 1D424562
	buffer_load_dword v56, s[20:23], 0 offen lds               // 00000000402C: E0511000 80050038
	s_add_u32 m0, 0x700, s48                                   // 000000004034: 807C30FF 00000700
	v_mfma_f32_16x16x32_fp8_fp8 v[80:83], a[100:101], a[36:37], v[80:83]// 00000000403C: D3F30050 1D424964
	v_mfma_f32_16x16x32_fp8_fp8 v[80:83], a[102:103], a[38:39], v[80:83]// 000000004044: D3F30050 1D424D66
	buffer_load_dword v57, s[20:23], 0 offen lds               // 00000000404C: E0511000 80050039
	s_add_u32 m0, 0x800, s48                                   // 000000004054: 807C30FF 00000800
	buffer_load_dword v58, s[20:23], 0 offen lds               // 00000000405C: E0511000 8005003A
	s_add_u32 m0, 0x900, s48                                   // 000000004064: 807C30FF 00000900
	buffer_load_dword v59, s[20:23], 0 offen lds               // 00000000406C: E0511000 8005003B
	s_add_u32 m0, 0, s49                                       // 000000004074: 807C3180
	s_waitcnt vmcnt(12)                                        // 000000004078: BF8C0F7C
	s_barrier                                                  // 00000000407C: BF8A0000
	v_mfma_f32_16x16x32_fp8_fp8 v[84:87], a[80:81], a[0:1], v[84:87]// 000000004080: D3F30054 1D520150
	v_mfma_f32_16x16x32_fp8_fp8 v[84:87], a[82:83], a[2:3], v[84:87]// 000000004088: D3F30054 1D520552
	buffer_load_dwordx4 a[96:99], v60, s[84:87], 0 offen       // 000000004090: E05C1000 8095603C
	v_mfma_f32_16x16x32_fp8_fp8 v[84:87], a[84:85], a[4:5], v[84:87]// 000000004098: D3F30054 1D520954
	v_mfma_f32_16x16x32_fp8_fp8 v[84:87], a[86:87], a[6:7], v[84:87]// 0000000040A0: D3F30054 1D520D56
	ds_read_b128 a[40:43], v2 offset:20736                     // 0000000040A8: DBFE5100 28000002
	ds_read_b128 a[44:47], v2 offset:20800                     // 0000000040B0: DBFE5140 2C000002
	v_mfma_f32_16x16x32_fp8_fp8 v[88:91], a[80:81], a[8:9], v[88:91]// 0000000040B8: D3F30058 1D621150
	v_mfma_f32_16x16x32_fp8_fp8 v[88:91], a[82:83], a[10:11], v[88:91]// 0000000040C0: D3F30058 1D621552
	buffer_load_dwordx4 a[100:103], v60, s[84:87], 0 offen offset:1024// 0000000040C8: E05C1400 8095643C
	v_mfma_f32_16x16x32_fp8_fp8 v[88:91], a[84:85], a[12:13], v[88:91]// 0000000040D0: D3F30058 1D621954
	v_mfma_f32_16x16x32_fp8_fp8 v[88:91], a[86:87], a[14:15], v[88:91]// 0000000040D8: D3F30058 1D621D56
	ds_read_b128 a[48:51], v2 offset:21248                     // 0000000040E0: DBFE5300 30000002
	ds_read_b128 a[52:55], v2 offset:21312                     // 0000000040E8: DBFE5340 34000002
	v_mfma_f32_16x16x32_fp8_fp8 v[92:95], a[80:81], a[16:17], v[92:95]// 0000000040F0: D3F3005C 1D722150
	v_mfma_f32_16x16x32_fp8_fp8 v[92:95], a[82:83], a[18:19], v[92:95]// 0000000040F8: D3F3005C 1D722552
	v_mfma_f32_16x16x32_fp8_fp8 v[92:95], a[84:85], a[20:21], v[92:95]// 000000004100: D3F3005C 1D722954
	v_mfma_f32_16x16x32_fp8_fp8 v[92:95], a[86:87], a[22:23], v[92:95]// 000000004108: D3F3005C 1D722D56
	ds_read_b128 a[56:59], v2 offset:21760                     // 000000004110: DBFE5500 38000002
	ds_read_b128 a[60:63], v2 offset:21824                     // 000000004118: DBFE5540 3C000002
	v_mfma_f32_16x16x32_fp8_fp8 v[96:99], a[80:81], a[24:25], v[96:99]// 000000004120: D3F30060 1D823150
	s_add_u32 s60, 0x180, s80                                  // 000000004128: 803C50FF 00000180
	s_cmp_lt_u32 s60, s81                                      // 000000004130: BF0A513C
	s_cselect_b32 s57, s57, 0                                  // 000000004134: 85398039
	v_mfma_f32_16x16x32_fp8_fp8 v[96:99], a[82:83], a[26:27], v[96:99]// 000000004138: D3F30060 1D823552
	s_add_u32 s60, 0x100, s80                                  // 000000004140: 803C50FF 00000100
	s_cmp_lt_u32 s60, s81                                      // 000000004148: BF0A513C
	s_cselect_b32 s58, s58, 0                                  // 00000000414C: 853A803A
	v_mfma_f32_16x16x32_fp8_fp8 v[96:99], a[84:85], a[28:29], v[96:99]// 000000004150: D3F30060 1D823954
	s_add_u32 s60, 0x100, s80                                  // 000000004158: 803C50FF 00000100
	s_cmp_lt_u32 s60, s81                                      // 000000004160: BF0A513C
	s_cselect_b32 s83, s83, 0                                  // 000000004164: 85538053
	v_mfma_f32_16x16x32_fp8_fp8 v[96:99], a[86:87], a[30:31], v[96:99]// 000000004168: D3F30060 1D823D56
	ds_read_b128 a[64:67], v2 offset:22272                     // 000000004170: DBFE5700 40000002
	ds_read_b128 a[68:71], v2 offset:22336                     // 000000004178: DBFE5740 44000002
	s_add_u32 s24, s58, s24                                    // 000000004180: 8018183A
	s_addc_u32 s25, 0, s25                                     // 000000004184: 82191980
	v_mfma_f32_16x16x32_fp8_fp8 v[100:103], a[80:81], a[32:33], v[100:103]// 000000004188: D3F30064 1D924150
	s_add_u32 s20, s57, s20                                    // 000000004190: 80141439
	s_addc_u32 s21, 0, s21                                     // 000000004194: 82151580
	v_mfma_f32_16x16x32_fp8_fp8 v[100:103], a[82:83], a[34:35], v[100:103]// 000000004198: D3F30064 1D924552
	s_add_u32 s84, s83, s84                                    // 0000000041A0: 80545453
	s_addc_u32 s85, 0, s85                                     // 0000000041A4: 82555580
	v_mfma_f32_16x16x32_fp8_fp8 v[100:103], a[84:85], a[36:37], v[100:103]// 0000000041A8: D3F30064 1D924954
	v_mfma_f32_16x16x32_fp8_fp8 v[100:103], a[86:87], a[38:39], v[100:103]// 0000000041B0: D3F30064 1D924D56
	ds_read_b128 a[72:75], v2 offset:22784                     // 0000000041B8: DBFE5900 48000002
	ds_read_b128 a[76:79], v2 offset:22848                     // 0000000041C0: DBFE5940 4C000002
	s_addk_i32 s80, 0x80                                       // 0000000041C8: B7500080
	s_cmp_lt_i32 s80, s81                                      // 0000000041CC: BF045150
	s_cbranch_scc0 label_06A1                                  // 0000000041D0: BF8400AC
	s_waitcnt vmcnt(12) lgkmcnt(0)                             // 0000000041D4: BF8C007C
	v_mfma_f32_16x16x32_fp8_fp8 v[64:67], a[88:89], a[40:41], v[64:67]// 0000000041D8: D3F30040 1D025158
	v_mfma_f32_16x16x32_fp8_fp8 v[64:67], a[90:91], a[42:43], v[64:67]// 0000000041E0: D3F30040 1D02555A
	buffer_load_dwordx4 a[80:83], v60, s[24:27], 0 offen       // 0000000041E8: E05C1000 8086503C
	v_mfma_f32_16x16x32_fp8_fp8 v[64:67], a[92:93], a[44:45], v[64:67]// 0000000041F0: D3F30040 1D02595C
	v_mfma_f32_16x16x32_fp8_fp8 v[64:67], a[94:95], a[46:47], v[64:67]// 0000000041F8: D3F30040 1D025D5E
	v_mfma_f32_16x16x32_fp8_fp8 v[68:71], a[88:89], a[48:49], v[68:71]// 000000004200: D3F30044 1D126158
	v_mfma_f32_16x16x32_fp8_fp8 v[68:71], a[90:91], a[50:51], v[68:71]// 000000004208: D3F30044 1D12655A
	buffer_load_dwordx4 a[84:87], v60, s[24:27], 0 offen offset:1024// 000000004210: E05C1400 8086543C
	buffer_load_dword v50, s[20:23], 0 offen lds               // 000000004218: E0511000 80050032
	s_add_u32 m0, 0x100, s49                                   // 000000004220: 807C31FF 00000100
	v_mfma_f32_16x16x32_fp8_fp8 v[68:71], a[92:93], a[52:53], v[68:71]// 000000004228: D3F30044 1D12695C
	v_mfma_f32_16x16x32_fp8_fp8 v[68:71], a[94:95], a[54:55], v[68:71]// 000000004230: D3F30044 1D126D5E
	buffer_load_dword v51, s[20:23], 0 offen lds               // 000000004238: E0511000 80050033
	s_add_u32 m0, 0x200, s49                                   // 000000004240: 807C31FF 00000200
	v_mfma_f32_16x16x32_fp8_fp8 v[72:75], a[88:89], a[56:57], v[72:75]// 000000004248: D3F30048 1D227158
	v_mfma_f32_16x16x32_fp8_fp8 v[72:75], a[90:91], a[58:59], v[72:75]// 000000004250: D3F30048 1D22755A
	buffer_load_dword v52, s[20:23], 0 offen lds               // 000000004258: E0511000 80050034
	s_add_u32 m0, 0x300, s49                                   // 000000004260: 807C31FF 00000300
	v_mfma_f32_16x16x32_fp8_fp8 v[72:75], a[92:93], a[60:61], v[72:75]// 000000004268: D3F30048 1D22795C
	v_mfma_f32_16x16x32_fp8_fp8 v[72:75], a[94:95], a[62:63], v[72:75]// 000000004270: D3F30048 1D227D5E
	buffer_load_dword v53, s[20:23], 0 offen lds               // 000000004278: E0511000 80050035
	s_add_u32 m0, 0x400, s49                                   // 000000004280: 807C31FF 00000400
	v_mfma_f32_16x16x32_fp8_fp8 v[76:79], a[88:89], a[64:65], v[76:79]// 000000004288: D3F3004C 1D328158
	v_mfma_f32_16x16x32_fp8_fp8 v[76:79], a[90:91], a[66:67], v[76:79]// 000000004290: D3F3004C 1D32855A
	buffer_load_dword v54, s[20:23], 0 offen lds               // 000000004298: E0511000 80050036
	s_add_u32 m0, 0x500, s49                                   // 0000000042A0: 807C31FF 00000500
	v_mfma_f32_16x16x32_fp8_fp8 v[76:79], a[92:93], a[68:69], v[76:79]// 0000000042A8: D3F3004C 1D32895C
	v_mfma_f32_16x16x32_fp8_fp8 v[76:79], a[94:95], a[70:71], v[76:79]// 0000000042B0: D3F3004C 1D328D5E
	buffer_load_dword v55, s[20:23], 0 offen lds               // 0000000042B8: E0511000 80050037
	s_add_u32 m0, 0x600, s49                                   // 0000000042C0: 807C31FF 00000600
	v_mfma_f32_16x16x32_fp8_fp8 v[80:83], a[88:89], a[72:73], v[80:83]// 0000000042C8: D3F30050 1D429158
	v_mfma_f32_16x16x32_fp8_fp8 v[80:83], a[90:91], a[74:75], v[80:83]// 0000000042D0: D3F30050 1D42955A
	buffer_load_dword v56, s[20:23], 0 offen lds               // 0000000042D8: E0511000 80050038
	s_add_u32 m0, 0x700, s49                                   // 0000000042E0: 807C31FF 00000700
	v_mfma_f32_16x16x32_fp8_fp8 v[80:83], a[92:93], a[76:77], v[80:83]// 0000000042E8: D3F30050 1D42995C
	v_mfma_f32_16x16x32_fp8_fp8 v[80:83], a[94:95], a[78:79], v[80:83]// 0000000042F0: D3F30050 1D429D5E
	buffer_load_dword v57, s[20:23], 0 offen lds               // 0000000042F8: E0511000 80050039
	s_add_u32 m0, 0x800, s49                                   // 000000004300: 807C31FF 00000800
	buffer_load_dword v58, s[20:23], 0 offen lds               // 000000004308: E0511000 8005003A
	s_add_u32 m0, 0x900, s49                                   // 000000004310: 807C31FF 00000900
	buffer_load_dword v59, s[20:23], 0 offen lds               // 000000004318: E0511000 8005003B
	s_add_u32 m0, 0, s50                                       // 000000004320: 807C3280
	s_waitcnt vmcnt(12)                                        // 000000004324: BF8C0F7C
	s_barrier                                                  // 000000004328: BF8A0000
	v_mfma_f32_16x16x32_fp8_fp8 v[84:87], a[96:97], a[40:41], v[84:87]// 00000000432C: D3F30054 1D525160
	v_mfma_f32_16x16x32_fp8_fp8 v[84:87], a[98:99], a[42:43], v[84:87]// 000000004334: D3F30054 1D525562
	buffer_load_dwordx4 a[88:91], v60, s[84:87], 0 offen       // 00000000433C: E05C1000 8095583C
	v_mfma_f32_16x16x32_fp8_fp8 v[84:87], a[100:101], a[44:45], v[84:87]// 000000004344: D3F30054 1D525964
	v_mfma_f32_16x16x32_fp8_fp8 v[84:87], a[102:103], a[46:47], v[84:87]// 00000000434C: D3F30054 1D525D66
	ds_read_b128 a[0:3], v2                                    // 000000004354: DBFE0000 00000002
	ds_read_b128 a[4:7], v2 offset:64                          // 00000000435C: DBFE0040 04000002
	v_mfma_f32_16x16x32_fp8_fp8 v[88:91], a[96:97], a[48:49], v[88:91]// 000000004364: D3F30058 1D626160
	v_mfma_f32_16x16x32_fp8_fp8 v[88:91], a[98:99], a[50:51], v[88:91]// 00000000436C: D3F30058 1D626562
	buffer_load_dwordx4 a[92:95], v60, s[84:87], 0 offen offset:1024// 000000004374: E05C1400 80955C3C
	v_mfma_f32_16x16x32_fp8_fp8 v[88:91], a[100:101], a[52:53], v[88:91]// 00000000437C: D3F30058 1D626964
	v_mfma_f32_16x16x32_fp8_fp8 v[88:91], a[102:103], a[54:55], v[88:91]// 000000004384: D3F30058 1D626D66
	ds_read_b128 a[8:11], v2 offset:512                        // 00000000438C: DBFE0200 08000002
	ds_read_b128 a[12:15], v2 offset:576                       // 000000004394: DBFE0240 0C000002
	v_mfma_f32_16x16x32_fp8_fp8 v[92:95], a[96:97], a[56:57], v[92:95]// 00000000439C: D3F3005C 1D727160
	v_mfma_f32_16x16x32_fp8_fp8 v[92:95], a[98:99], a[58:59], v[92:95]// 0000000043A4: D3F3005C 1D727562
	v_mfma_f32_16x16x32_fp8_fp8 v[92:95], a[100:101], a[60:61], v[92:95]// 0000000043AC: D3F3005C 1D727964
	v_mfma_f32_16x16x32_fp8_fp8 v[92:95], a[102:103], a[62:63], v[92:95]// 0000000043B4: D3F3005C 1D727D66
	ds_read_b128 a[16:19], v2 offset:1024                      // 0000000043BC: DBFE0400 10000002
	ds_read_b128 a[20:23], v2 offset:1088                      // 0000000043C4: DBFE0440 14000002
	v_mfma_f32_16x16x32_fp8_fp8 v[96:99], a[96:97], a[64:65], v[96:99]// 0000000043CC: D3F30060 1D828160
	s_add_u32 s60, 0x180, s80                                  // 0000000043D4: 803C50FF 00000180
	s_cmp_lt_u32 s60, s81                                      // 0000000043DC: BF0A513C
	s_cselect_b32 s57, s57, 0                                  // 0000000043E0: 85398039
	v_mfma_f32_16x16x32_fp8_fp8 v[96:99], a[98:99], a[66:67], v[96:99]// 0000000043E4: D3F30060 1D828562
	s_add_u32 s60, 0x100, s80                                  // 0000000043EC: 803C50FF 00000100
	s_cmp_lt_u32 s60, s81                                      // 0000000043F4: BF0A513C
	s_cselect_b32 s58, s58, 0                                  // 0000000043F8: 853A803A
	v_mfma_f32_16x16x32_fp8_fp8 v[96:99], a[100:101], a[68:69], v[96:99]// 0000000043FC: D3F30060 1D828964
	s_add_u32 s60, 0x100, s80                                  // 000000004404: 803C50FF 00000100
	s_cmp_lt_u32 s60, s81                                      // 00000000440C: BF0A513C
	s_cselect_b32 s83, s83, 0                                  // 000000004410: 85538053
	v_mfma_f32_16x16x32_fp8_fp8 v[96:99], a[102:103], a[70:71], v[96:99]// 000000004414: D3F30060 1D828D66
	ds_read_b128 a[24:27], v2 offset:1536                      // 00000000441C: DBFE0600 18000002
	ds_read_b128 a[28:31], v2 offset:1600                      // 000000004424: DBFE0640 1C000002
	s_add_u32 s24, s58, s24                                    // 00000000442C: 8018183A
	s_addc_u32 s25, 0, s25                                     // 000000004430: 82191980
	v_mfma_f32_16x16x32_fp8_fp8 v[100:103], a[96:97], a[72:73], v[100:103]// 000000004434: D3F30064 1D929160
	s_add_u32 s20, s57, s20                                    // 00000000443C: 80141439
	s_addc_u32 s21, 0, s21                                     // 000000004440: 82151580
	v_mfma_f32_16x16x32_fp8_fp8 v[100:103], a[98:99], a[74:75], v[100:103]// 000000004444: D3F30064 1D929562
	s_add_u32 s84, s83, s84                                    // 00000000444C: 80545453
	s_addc_u32 s85, 0, s85                                     // 000000004450: 82555580
	v_mfma_f32_16x16x32_fp8_fp8 v[100:103], a[100:101], a[76:77], v[100:103]// 000000004454: D3F30064 1D929964
	v_mfma_f32_16x16x32_fp8_fp8 v[100:103], a[102:103], a[78:79], v[100:103]// 00000000445C: D3F30064 1D929D66
	ds_read_b128 a[32:35], v2 offset:2048                      // 000000004464: DBFE0800 20000002
	ds_read_b128 a[36:39], v2 offset:2112                      // 00000000446C: DBFE0840 24000002
	s_addk_i32 s80, 0x80                                       // 000000004474: B7500080
	s_cmp_lt_i32 s80, s81                                      // 000000004478: BF045150
	s_cbranch_scc0 label_06A1                                  // 00000000447C: BF840001
	s_branch label_029E                                        // 000000004480: BF82FBFD

0000000000004484 <label_06A1>:
	v_mul_f32_dpp v64, v24, v64 row_newbcast:0 row_mask:0xf bank_mask:0xf// 000000004484: 0A8080FA FF015018
	v_mul_f32_dpp v65, v24, v65 row_newbcast:1 row_mask:0xf bank_mask:0xf// 00000000448C: 0A8282FA FF015118
	v_mul_f32_dpp v66, v24, v66 row_newbcast:2 row_mask:0xf bank_mask:0xf// 000000004494: 0A8484FA FF015218
	v_mul_f32_dpp v67, v24, v67 row_newbcast:3 row_mask:0xf bank_mask:0xf// 00000000449C: 0A8686FA FF015318
	v_mul_f32_dpp v68, v24, v68 row_newbcast:0 row_mask:0xf bank_mask:0xf// 0000000044A4: 0A8888FA FF015018
	v_mul_f32_dpp v69, v24, v69 row_newbcast:1 row_mask:0xf bank_mask:0xf// 0000000044AC: 0A8A8AFA FF015118
	v_mul_f32_dpp v70, v24, v70 row_newbcast:2 row_mask:0xf bank_mask:0xf// 0000000044B4: 0A8C8CFA FF015218
	v_mul_f32_dpp v71, v24, v71 row_newbcast:3 row_mask:0xf bank_mask:0xf// 0000000044BC: 0A8E8EFA FF015318
	v_mul_f32_dpp v72, v24, v72 row_newbcast:0 row_mask:0xf bank_mask:0xf// 0000000044C4: 0A9090FA FF015018
	v_mul_f32_dpp v73, v24, v73 row_newbcast:1 row_mask:0xf bank_mask:0xf// 0000000044CC: 0A9292FA FF015118
	v_mul_f32_dpp v74, v24, v74 row_newbcast:2 row_mask:0xf bank_mask:0xf// 0000000044D4: 0A9494FA FF015218
	v_mul_f32_dpp v75, v24, v75 row_newbcast:3 row_mask:0xf bank_mask:0xf// 0000000044DC: 0A9696FA FF015318
	v_mul_f32_dpp v76, v24, v76 row_newbcast:0 row_mask:0xf bank_mask:0xf// 0000000044E4: 0A9898FA FF015018
	v_mul_f32_dpp v77, v24, v77 row_newbcast:1 row_mask:0xf bank_mask:0xf// 0000000044EC: 0A9A9AFA FF015118
	v_mul_f32_dpp v78, v24, v78 row_newbcast:2 row_mask:0xf bank_mask:0xf// 0000000044F4: 0A9C9CFA FF015218
	v_mul_f32_dpp v79, v24, v79 row_newbcast:3 row_mask:0xf bank_mask:0xf// 0000000044FC: 0A9E9EFA FF015318
	v_mul_f32_dpp v80, v24, v80 row_newbcast:0 row_mask:0xf bank_mask:0xf// 000000004504: 0AA0A0FA FF015018
	v_mul_f32_dpp v81, v24, v81 row_newbcast:1 row_mask:0xf bank_mask:0xf// 00000000450C: 0AA2A2FA FF015118
	v_mul_f32_dpp v82, v24, v82 row_newbcast:2 row_mask:0xf bank_mask:0xf// 000000004514: 0AA4A4FA FF015218
	v_mul_f32_dpp v83, v24, v83 row_newbcast:3 row_mask:0xf bank_mask:0xf// 00000000451C: 0AA6A6FA FF015318
	v_mul_f32_dpp v84, v27, v84 row_newbcast:0 row_mask:0xf bank_mask:0xf// 000000004524: 0AA8A8FA FF01501B
	v_mul_f32_dpp v85, v27, v85 row_newbcast:1 row_mask:0xf bank_mask:0xf// 00000000452C: 0AAAAAFA FF01511B
	v_mul_f32_dpp v86, v27, v86 row_newbcast:2 row_mask:0xf bank_mask:0xf// 000000004534: 0AACACFA FF01521B
	v_mul_f32_dpp v87, v27, v87 row_newbcast:3 row_mask:0xf bank_mask:0xf// 00000000453C: 0AAEAEFA FF01531B
	v_mul_f32_dpp v88, v27, v88 row_newbcast:0 row_mask:0xf bank_mask:0xf// 000000004544: 0AB0B0FA FF01501B
	v_mul_f32_dpp v89, v27, v89 row_newbcast:1 row_mask:0xf bank_mask:0xf// 00000000454C: 0AB2B2FA FF01511B
	v_mul_f32_dpp v90, v27, v90 row_newbcast:2 row_mask:0xf bank_mask:0xf// 000000004554: 0AB4B4FA FF01521B
	v_mul_f32_dpp v91, v27, v91 row_newbcast:3 row_mask:0xf bank_mask:0xf// 00000000455C: 0AB6B6FA FF01531B
	v_mul_f32_dpp v92, v27, v92 row_newbcast:0 row_mask:0xf bank_mask:0xf// 000000004564: 0AB8B8FA FF01501B
	v_mul_f32_dpp v93, v27, v93 row_newbcast:1 row_mask:0xf bank_mask:0xf// 00000000456C: 0ABABAFA FF01511B
	v_mul_f32_dpp v94, v27, v94 row_newbcast:2 row_mask:0xf bank_mask:0xf// 000000004574: 0ABCBCFA FF01521B
	v_mul_f32_dpp v95, v27, v95 row_newbcast:3 row_mask:0xf bank_mask:0xf// 00000000457C: 0ABEBEFA FF01531B
	v_mul_f32_dpp v96, v27, v96 row_newbcast:0 row_mask:0xf bank_mask:0xf// 000000004584: 0AC0C0FA FF01501B
	v_mul_f32_dpp v97, v27, v97 row_newbcast:1 row_mask:0xf bank_mask:0xf// 00000000458C: 0AC2C2FA FF01511B
	v_mul_f32_dpp v98, v27, v98 row_newbcast:2 row_mask:0xf bank_mask:0xf// 000000004594: 0AC4C4FA FF01521B
	v_mul_f32_dpp v99, v27, v99 row_newbcast:3 row_mask:0xf bank_mask:0xf// 00000000459C: 0AC6C6FA FF01531B
	v_mul_f32_dpp v100, v27, v100 row_newbcast:0 row_mask:0xf bank_mask:0xf// 0000000045A4: 0AC8C8FA FF01501B
	v_mul_f32_dpp v101, v27, v101 row_newbcast:1 row_mask:0xf bank_mask:0xf// 0000000045AC: 0ACACAFA FF01511B
	v_mul_f32_dpp v102, v27, v102 row_newbcast:2 row_mask:0xf bank_mask:0xf// 0000000045B4: 0ACCCCFA FF01521B
	v_mul_f32_dpp v103, v27, v103 row_newbcast:3 row_mask:0xf bank_mask:0xf// 0000000045BC: 0ACECEFA FF01531B
	v_mul_f32_e32 v35, v35, v104                               // 0000000045C4: 0A46D123
	v_mov_b32_e32 v4, v35                                      // 0000000045C8: 7E080323
	v_mov_b32_e32 v5, v4                                       // 0000000045CC: 7E0A0304
	v_pk_mul_f32 v[64:65], v[4:5], v[64:65]                    // 0000000045D0: D3B14040 18028104
	v_pk_mul_f32 v[84:85], v[4:5], v[84:85]                    // 0000000045D8: D3B14054 1802A904
	v_pk_mul_f32 v[66:67], v[4:5], v[66:67]                    // 0000000045E0: D3B14042 18028504
	v_pk_mul_f32 v[86:87], v[4:5], v[86:87]                    // 0000000045E8: D3B14056 1802AD04
	v_mul_f32_e32 v36, v36, v105                               // 0000000045F0: 0A48D324
	v_mov_b32_e32 v4, v36                                      // 0000000045F4: 7E080324
	v_mov_b32_e32 v5, v4                                       // 0000000045F8: 7E0A0304
	v_pk_mul_f32 v[68:69], v[4:5], v[68:69]                    // 0000000045FC: D3B14044 18028904
	v_pk_mul_f32 v[88:89], v[4:5], v[88:89]                    // 000000004604: D3B14058 1802B104
	v_pk_mul_f32 v[70:71], v[4:5], v[70:71]                    // 00000000460C: D3B14046 18028D04
	v_pk_mul_f32 v[90:91], v[4:5], v[90:91]                    // 000000004614: D3B1405A 1802B504
	v_mul_f32_e32 v37, v37, v106                               // 00000000461C: 0A4AD525
	v_mov_b32_e32 v4, v37                                      // 000000004620: 7E080325
	v_mov_b32_e32 v5, v4                                       // 000000004624: 7E0A0304
	v_pk_mul_f32 v[72:73], v[4:5], v[72:73]                    // 000000004628: D3B14048 18029104
	v_pk_mul_f32 v[92:93], v[4:5], v[92:93]                    // 000000004630: D3B1405C 1802B904
	v_pk_mul_f32 v[74:75], v[4:5], v[74:75]                    // 000000004638: D3B1404A 18029504
	v_pk_mul_f32 v[94:95], v[4:5], v[94:95]                    // 000000004640: D3B1405E 1802BD04
	v_mul_f32_e32 v38, v38, v107                               // 000000004648: 0A4CD726
	v_mov_b32_e32 v4, v38                                      // 00000000464C: 7E080326
	v_mov_b32_e32 v5, v4                                       // 000000004650: 7E0A0304
	v_pk_mul_f32 v[76:77], v[4:5], v[76:77]                    // 000000004654: D3B1404C 18029904
	v_pk_mul_f32 v[96:97], v[4:5], v[96:97]                    // 00000000465C: D3B14060 1802C104
	v_pk_mul_f32 v[78:79], v[4:5], v[78:79]                    // 000000004664: D3B1404E 18029D04
	v_pk_mul_f32 v[98:99], v[4:5], v[98:99]                    // 00000000466C: D3B14062 1802C504
	v_mul_f32_e32 v39, v39, v108                               // 000000004674: 0A4ED927
	v_mov_b32_e32 v4, v39                                      // 000000004678: 7E080327
	v_mov_b32_e32 v5, v4                                       // 00000000467C: 7E0A0304
	v_pk_mul_f32 v[80:81], v[4:5], v[80:81]                    // 000000004680: D3B14050 1802A104
	v_pk_mul_f32 v[100:101], v[4:5], v[100:101]                // 000000004688: D3B14064 1802C904
	v_pk_mul_f32 v[82:83], v[4:5], v[82:83]                    // 000000004690: D3B14052 1802A504
	v_pk_mul_f32 v[102:103], v[4:5], v[102:103]                // 000000004698: D3B14066 1802CD04
	s_cmp_eq_u32 s88, 0                                        // 0000000046A0: BF068058
	s_cbranch_scc0 label_0AED                                  // 0000000046A4: BF8403C3
	s_cmp_eq_u32 s89, 0                                        // 0000000046A8: BF068059
	s_cbranch_scc1 label_07F9                                  // 0000000046AC: BF8500CD
	v_mov_b32_e32 v8, v1                                       // 0000000046B0: 7E100301
	v_mov_b32_e32 v9, v1                                       // 0000000046B4: 7E120301
	s_mov_b32 s60, s6                                          // 0000000046B8: BEBC0006
	s_mov_b32 s61, s6                                          // 0000000046BC: BEBD0006
	v_pk_mul_f32 v[4:5], v[64:65], v[64:65]                    // 0000000046C0: D3B14004 18028140
	v_pk_mul_f32 v[6:7], v[66:67], v[66:67]                    // 0000000046C8: D3B14006 18028542
	v_pk_fma_f32 v[4:5], v[4:5], s[78:79], v[8:9]              // 0000000046D0: D3B04004 1C209D04
	v_pk_fma_f32 v[6:7], v[6:7], s[78:79], v[8:9]              // 0000000046D8: D3B04006 1C209D06
	v_pk_mul_f32 v[4:5], v[4:5], v[64:65]                      // 0000000046E0: D3B14004 18028104
	v_pk_mul_f32 v[6:7], v[6:7], v[66:67]                      // 0000000046E8: D3B14006 18028506
	v_pk_mul_f32 v[4:5], v[4:5], s[60:61]                      // 0000000046F0: D3B14004 18007904
	v_pk_mul_f32 v[6:7], v[6:7], s[60:61]                      // 0000000046F8: D3B14006 18007906
	v_exp_f32_e32 v4, v4                                       // 000000004700: 7E084104
	v_exp_f32_e32 v5, v5                                       // 000000004704: 7E0A4105
	v_exp_f32_e32 v6, v6                                       // 000000004708: 7E0C4106
	v_exp_f32_e32 v7, v7                                       // 00000000470C: 7E0E4107
	v_add_f32_e64 v4, v4, 1.0                                  // 000000004710: D1010004 0001E504
	v_add_f32_e64 v5, v5, 1.0                                  // 000000004718: D1010005 0001E505
	v_add_f32_e64 v6, v6, 1.0                                  // 000000004720: D1010006 0001E506
	v_add_f32_e64 v7, v7, 1.0                                  // 000000004728: D1010007 0001E507
	v_rcp_f32_e32 v4, v4                                       // 000000004730: 7E084504
	v_rcp_f32_e32 v5, v5                                       // 000000004734: 7E0A4505
	v_rcp_f32_e32 v6, v6                                       // 000000004738: 7E0C4506
	v_rcp_f32_e32 v7, v7                                       // 00000000473C: 7E0E4507
	v_mul_f32_e32 v64, v64, v4                                 // 000000004740: 0A800940
	v_mul_f32_e32 v65, v65, v5                                 // 000000004744: 0A820B41
	v_mul_f32_e32 v66, v66, v6                                 // 000000004748: 0A840D42
	v_mul_f32_e32 v67, v67, v7                                 // 00000000474C: 0A860F43
	v_mul_f32_e32 v64, v64, v84                                // 000000004750: 0A80A940
	v_mul_f32_e32 v65, v65, v85                                // 000000004754: 0A82AB41
	v_mul_f32_e32 v66, v66, v86                                // 000000004758: 0A84AD42
	v_mul_f32_e32 v67, v67, v87                                // 00000000475C: 0A86AF43
	v_pk_mul_f32 v[4:5], v[68:69], v[68:69]                    // 000000004760: D3B14004 18028944
	v_pk_mul_f32 v[6:7], v[70:71], v[70:71]                    // 000000004768: D3B14006 18028D46
	v_pk_fma_f32 v[4:5], v[4:5], s[78:79], v[8:9]              // 000000004770: D3B04004 1C209D04
	v_pk_fma_f32 v[6:7], v[6:7], s[78:79], v[8:9]              // 000000004778: D3B04006 1C209D06
	v_pk_mul_f32 v[4:5], v[4:5], v[68:69]                      // 000000004780: D3B14004 18028904
	v_pk_mul_f32 v[6:7], v[6:7], v[70:71]                      // 000000004788: D3B14006 18028D06
	v_pk_mul_f32 v[4:5], v[4:5], s[60:61]                      // 000000004790: D3B14004 18007904
	v_pk_mul_f32 v[6:7], v[6:7], s[60:61]                      // 000000004798: D3B14006 18007906
	v_exp_f32_e32 v4, v4                                       // 0000000047A0: 7E084104
	v_exp_f32_e32 v5, v5                                       // 0000000047A4: 7E0A4105
	v_exp_f32_e32 v6, v6                                       // 0000000047A8: 7E0C4106
	v_exp_f32_e32 v7, v7                                       // 0000000047AC: 7E0E4107
	v_add_f32_e64 v4, v4, 1.0                                  // 0000000047B0: D1010004 0001E504
	v_add_f32_e64 v5, v5, 1.0                                  // 0000000047B8: D1010005 0001E505
	v_add_f32_e64 v6, v6, 1.0                                  // 0000000047C0: D1010006 0001E506
	v_add_f32_e64 v7, v7, 1.0                                  // 0000000047C8: D1010007 0001E507
	v_rcp_f32_e32 v4, v4                                       // 0000000047D0: 7E084504
	v_rcp_f32_e32 v5, v5                                       // 0000000047D4: 7E0A4505
	v_rcp_f32_e32 v6, v6                                       // 0000000047D8: 7E0C4506
	v_rcp_f32_e32 v7, v7                                       // 0000000047DC: 7E0E4507
	v_mul_f32_e32 v68, v68, v4                                 // 0000000047E0: 0A880944
	v_mul_f32_e32 v69, v69, v5                                 // 0000000047E4: 0A8A0B45
	v_mul_f32_e32 v70, v70, v6                                 // 0000000047E8: 0A8C0D46
	v_mul_f32_e32 v71, v71, v7                                 // 0000000047EC: 0A8E0F47
	v_mul_f32_e32 v68, v68, v88                                // 0000000047F0: 0A88B144
	v_mul_f32_e32 v69, v69, v89                                // 0000000047F4: 0A8AB345
	v_mul_f32_e32 v70, v70, v90                                // 0000000047F8: 0A8CB546
	v_mul_f32_e32 v71, v71, v91                                // 0000000047FC: 0A8EB747
	v_pk_mul_f32 v[4:5], v[72:73], v[72:73]                    // 000000004800: D3B14004 18029148
	v_pk_mul_f32 v[6:7], v[74:75], v[74:75]                    // 000000004808: D3B14006 1802954A
	v_pk_fma_f32 v[4:5], v[4:5], s[78:79], v[8:9]              // 000000004810: D3B04004 1C209D04
	v_pk_fma_f32 v[6:7], v[6:7], s[78:79], v[8:9]              // 000000004818: D3B04006 1C209D06
	v_pk_mul_f32 v[4:5], v[4:5], v[72:73]                      // 000000004820: D3B14004 18029104
	v_pk_mul_f32 v[6:7], v[6:7], v[74:75]                      // 000000004828: D3B14006 18029506
	v_pk_mul_f32 v[4:5], v[4:5], s[60:61]                      // 000000004830: D3B14004 18007904
	v_pk_mul_f32 v[6:7], v[6:7], s[60:61]                      // 000000004838: D3B14006 18007906
	v_exp_f32_e32 v4, v4                                       // 000000004840: 7E084104
	v_exp_f32_e32 v5, v5                                       // 000000004844: 7E0A4105
	v_exp_f32_e32 v6, v6                                       // 000000004848: 7E0C4106
	v_exp_f32_e32 v7, v7                                       // 00000000484C: 7E0E4107
	v_add_f32_e64 v4, v4, 1.0                                  // 000000004850: D1010004 0001E504
	v_add_f32_e64 v5, v5, 1.0                                  // 000000004858: D1010005 0001E505
	v_add_f32_e64 v6, v6, 1.0                                  // 000000004860: D1010006 0001E506
	v_add_f32_e64 v7, v7, 1.0                                  // 000000004868: D1010007 0001E507
	v_rcp_f32_e32 v4, v4                                       // 000000004870: 7E084504
	v_rcp_f32_e32 v5, v5                                       // 000000004874: 7E0A4505
	v_rcp_f32_e32 v6, v6                                       // 000000004878: 7E0C4506
	v_rcp_f32_e32 v7, v7                                       // 00000000487C: 7E0E4507
	v_mul_f32_e32 v72, v72, v4                                 // 000000004880: 0A900948
	v_mul_f32_e32 v73, v73, v5                                 // 000000004884: 0A920B49
	v_mul_f32_e32 v74, v74, v6                                 // 000000004888: 0A940D4A
	v_mul_f32_e32 v75, v75, v7                                 // 00000000488C: 0A960F4B
	v_mul_f32_e32 v72, v72, v92                                // 000000004890: 0A90B948
	v_mul_f32_e32 v73, v73, v93                                // 000000004894: 0A92BB49
	v_mul_f32_e32 v74, v74, v94                                // 000000004898: 0A94BD4A
	v_mul_f32_e32 v75, v75, v95                                // 00000000489C: 0A96BF4B
	v_pk_mul_f32 v[4:5], v[76:77], v[76:77]                    // 0000000048A0: D3B14004 1802994C
	v_pk_mul_f32 v[6:7], v[78:79], v[78:79]                    // 0000000048A8: D3B14006 18029D4E
	v_pk_fma_f32 v[4:5], v[4:5], s[78:79], v[8:9]              // 0000000048B0: D3B04004 1C209D04
	v_pk_fma_f32 v[6:7], v[6:7], s[78:79], v[8:9]              // 0000000048B8: D3B04006 1C209D06
	v_pk_mul_f32 v[4:5], v[4:5], v[76:77]                      // 0000000048C0: D3B14004 18029904
	v_pk_mul_f32 v[6:7], v[6:7], v[78:79]                      // 0000000048C8: D3B14006 18029D06
	v_pk_mul_f32 v[4:5], v[4:5], s[60:61]                      // 0000000048D0: D3B14004 18007904
	v_pk_mul_f32 v[6:7], v[6:7], s[60:61]                      // 0000000048D8: D3B14006 18007906
	v_exp_f32_e32 v4, v4                                       // 0000000048E0: 7E084104
	v_exp_f32_e32 v5, v5                                       // 0000000048E4: 7E0A4105
	v_exp_f32_e32 v6, v6                                       // 0000000048E8: 7E0C4106
	v_exp_f32_e32 v7, v7                                       // 0000000048EC: 7E0E4107
	v_add_f32_e64 v4, v4, 1.0                                  // 0000000048F0: D1010004 0001E504
	v_add_f32_e64 v5, v5, 1.0                                  // 0000000048F8: D1010005 0001E505
	v_add_f32_e64 v6, v6, 1.0                                  // 000000004900: D1010006 0001E506
	v_add_f32_e64 v7, v7, 1.0                                  // 000000004908: D1010007 0001E507
	v_rcp_f32_e32 v4, v4                                       // 000000004910: 7E084504
	v_rcp_f32_e32 v5, v5                                       // 000000004914: 7E0A4505
	v_rcp_f32_e32 v6, v6                                       // 000000004918: 7E0C4506
	v_rcp_f32_e32 v7, v7                                       // 00000000491C: 7E0E4507
	v_mul_f32_e32 v76, v76, v4                                 // 000000004920: 0A98094C
	v_mul_f32_e32 v77, v77, v5                                 // 000000004924: 0A9A0B4D
	v_mul_f32_e32 v78, v78, v6                                 // 000000004928: 0A9C0D4E
	v_mul_f32_e32 v79, v79, v7                                 // 00000000492C: 0A9E0F4F
	v_mul_f32_e32 v76, v76, v96                                // 000000004930: 0A98C14C
	v_mul_f32_e32 v77, v77, v97                                // 000000004934: 0A9AC34D
	v_mul_f32_e32 v78, v78, v98                                // 000000004938: 0A9CC54E
	v_mul_f32_e32 v79, v79, v99                                // 00000000493C: 0A9EC74F
	v_pk_mul_f32 v[4:5], v[80:81], v[80:81]                    // 000000004940: D3B14004 1802A150
	v_pk_mul_f32 v[6:7], v[82:83], v[82:83]                    // 000000004948: D3B14006 1802A552
	v_pk_fma_f32 v[4:5], v[4:5], s[78:79], v[8:9]              // 000000004950: D3B04004 1C209D04
	v_pk_fma_f32 v[6:7], v[6:7], s[78:79], v[8:9]              // 000000004958: D3B04006 1C209D06
	v_pk_mul_f32 v[4:5], v[4:5], v[80:81]                      // 000000004960: D3B14004 1802A104
	v_pk_mul_f32 v[6:7], v[6:7], v[82:83]                      // 000000004968: D3B14006 1802A506
	v_pk_mul_f32 v[4:5], v[4:5], s[60:61]                      // 000000004970: D3B14004 18007904
	v_pk_mul_f32 v[6:7], v[6:7], s[60:61]                      // 000000004978: D3B14006 18007906
	v_exp_f32_e32 v4, v4                                       // 000000004980: 7E084104
	v_exp_f32_e32 v5, v5                                       // 000000004984: 7E0A4105
	v_exp_f32_e32 v6, v6                                       // 000000004988: 7E0C4106
	v_exp_f32_e32 v7, v7                                       // 00000000498C: 7E0E4107
	v_add_f32_e64 v4, v4, 1.0                                  // 000000004990: D1010004 0001E504
	v_add_f32_e64 v5, v5, 1.0                                  // 000000004998: D1010005 0001E505
	v_add_f32_e64 v6, v6, 1.0                                  // 0000000049A0: D1010006 0001E506
	v_add_f32_e64 v7, v7, 1.0                                  // 0000000049A8: D1010007 0001E507
	v_rcp_f32_e32 v4, v4                                       // 0000000049B0: 7E084504
	v_rcp_f32_e32 v5, v5                                       // 0000000049B4: 7E0A4505
	v_rcp_f32_e32 v6, v6                                       // 0000000049B8: 7E0C4506
	v_rcp_f32_e32 v7, v7                                       // 0000000049BC: 7E0E4507
	v_mul_f32_e32 v80, v80, v4                                 // 0000000049C0: 0AA00950
	v_mul_f32_e32 v81, v81, v5                                 // 0000000049C4: 0AA20B51
	v_mul_f32_e32 v82, v82, v6                                 // 0000000049C8: 0AA40D52
	v_mul_f32_e32 v83, v83, v7                                 // 0000000049CC: 0AA60F53
	v_mul_f32_e32 v80, v80, v100                               // 0000000049D0: 0AA0C950
	v_mul_f32_e32 v81, v81, v101                               // 0000000049D4: 0AA2CB51
	v_mul_f32_e32 v82, v82, v102                               // 0000000049D8: 0AA4CD52
	v_mul_f32_e32 v83, v83, v103                               // 0000000049DC: 0AA6CF53
	s_branch label_0899                                        // 0000000049E0: BF8200A0

00000000000049e4 <label_07F9>:
	v_mul_f32_e64 v4, -v64, s6                                 // 0000000049E4: D1050004 20000D40
	v_mul_f32_e64 v5, -v65, s6                                 // 0000000049EC: D1050005 20000D41
	v_mul_f32_e64 v6, -v66, s6                                 // 0000000049F4: D1050006 20000D42
	v_mul_f32_e64 v7, -v67, s6                                 // 0000000049FC: D1050007 20000D43
	v_exp_f32_e32 v4, v4                                       // 000000004A04: 7E084104
	v_exp_f32_e32 v5, v5                                       // 000000004A08: 7E0A4105
	v_exp_f32_e32 v6, v6                                       // 000000004A0C: 7E0C4106
	v_exp_f32_e32 v7, v7                                       // 000000004A10: 7E0E4107
	v_add_f32_e64 v4, v4, 1.0                                  // 000000004A14: D1010004 0001E504
	v_add_f32_e64 v5, v5, 1.0                                  // 000000004A1C: D1010005 0001E505
	v_add_f32_e64 v6, v6, 1.0                                  // 000000004A24: D1010006 0001E506
	v_add_f32_e64 v7, v7, 1.0                                  // 000000004A2C: D1010007 0001E507
	v_rcp_f32_e32 v4, v4                                       // 000000004A34: 7E084504
	v_rcp_f32_e32 v5, v5                                       // 000000004A38: 7E0A4505
	v_rcp_f32_e32 v6, v6                                       // 000000004A3C: 7E0C4506
	v_rcp_f32_e32 v7, v7                                       // 000000004A40: 7E0E4507
	v_mul_f32_e32 v64, v64, v4                                 // 000000004A44: 0A800940
	v_mul_f32_e32 v65, v65, v5                                 // 000000004A48: 0A820B41
	v_mul_f32_e32 v66, v66, v6                                 // 000000004A4C: 0A840D42
	v_mul_f32_e32 v67, v67, v7                                 // 000000004A50: 0A860F43
	v_mul_f32_e32 v64, v64, v84                                // 000000004A54: 0A80A940
	v_mul_f32_e32 v65, v65, v85                                // 000000004A58: 0A82AB41
	v_mul_f32_e32 v66, v66, v86                                // 000000004A5C: 0A84AD42
	v_mul_f32_e32 v67, v67, v87                                // 000000004A60: 0A86AF43
	v_mul_f32_e64 v4, -v68, s6                                 // 000000004A64: D1050004 20000D44
	v_mul_f32_e64 v5, -v69, s6                                 // 000000004A6C: D1050005 20000D45
	v_mul_f32_e64 v6, -v70, s6                                 // 000000004A74: D1050006 20000D46
	v_mul_f32_e64 v7, -v71, s6                                 // 000000004A7C: D1050007 20000D47
	v_exp_f32_e32 v4, v4                                       // 000000004A84: 7E084104
	v_exp_f32_e32 v5, v5                                       // 000000004A88: 7E0A4105
	v_exp_f32_e32 v6, v6                                       // 000000004A8C: 7E0C4106
	v_exp_f32_e32 v7, v7                                       // 000000004A90: 7E0E4107
	v_add_f32_e64 v4, v4, 1.0                                  // 000000004A94: D1010004 0001E504
	v_add_f32_e64 v5, v5, 1.0                                  // 000000004A9C: D1010005 0001E505
	v_add_f32_e64 v6, v6, 1.0                                  // 000000004AA4: D1010006 0001E506
	v_add_f32_e64 v7, v7, 1.0                                  // 000000004AAC: D1010007 0001E507
	v_rcp_f32_e32 v4, v4                                       // 000000004AB4: 7E084504
	v_rcp_f32_e32 v5, v5                                       // 000000004AB8: 7E0A4505
	v_rcp_f32_e32 v6, v6                                       // 000000004ABC: 7E0C4506
	v_rcp_f32_e32 v7, v7                                       // 000000004AC0: 7E0E4507
	v_mul_f32_e32 v68, v68, v4                                 // 000000004AC4: 0A880944
	v_mul_f32_e32 v69, v69, v5                                 // 000000004AC8: 0A8A0B45
	v_mul_f32_e32 v70, v70, v6                                 // 000000004ACC: 0A8C0D46
	v_mul_f32_e32 v71, v71, v7                                 // 000000004AD0: 0A8E0F47
	v_mul_f32_e32 v68, v68, v88                                // 000000004AD4: 0A88B144
	v_mul_f32_e32 v69, v69, v89                                // 000000004AD8: 0A8AB345
	v_mul_f32_e32 v70, v70, v90                                // 000000004ADC: 0A8CB546
	v_mul_f32_e32 v71, v71, v91                                // 000000004AE0: 0A8EB747
	v_mul_f32_e64 v4, -v72, s6                                 // 000000004AE4: D1050004 20000D48
	v_mul_f32_e64 v5, -v73, s6                                 // 000000004AEC: D1050005 20000D49
	v_mul_f32_e64 v6, -v74, s6                                 // 000000004AF4: D1050006 20000D4A
	v_mul_f32_e64 v7, -v75, s6                                 // 000000004AFC: D1050007 20000D4B
	v_exp_f32_e32 v4, v4                                       // 000000004B04: 7E084104
	v_exp_f32_e32 v5, v5                                       // 000000004B08: 7E0A4105
	v_exp_f32_e32 v6, v6                                       // 000000004B0C: 7E0C4106
	v_exp_f32_e32 v7, v7                                       // 000000004B10: 7E0E4107
	v_add_f32_e64 v4, v4, 1.0                                  // 000000004B14: D1010004 0001E504
	v_add_f32_e64 v5, v5, 1.0                                  // 000000004B1C: D1010005 0001E505
	v_add_f32_e64 v6, v6, 1.0                                  // 000000004B24: D1010006 0001E506
	v_add_f32_e64 v7, v7, 1.0                                  // 000000004B2C: D1010007 0001E507
	v_rcp_f32_e32 v4, v4                                       // 000000004B34: 7E084504
	v_rcp_f32_e32 v5, v5                                       // 000000004B38: 7E0A4505
	v_rcp_f32_e32 v6, v6                                       // 000000004B3C: 7E0C4506
	v_rcp_f32_e32 v7, v7                                       // 000000004B40: 7E0E4507
	v_mul_f32_e32 v72, v72, v4                                 // 000000004B44: 0A900948
	v_mul_f32_e32 v73, v73, v5                                 // 000000004B48: 0A920B49
	v_mul_f32_e32 v74, v74, v6                                 // 000000004B4C: 0A940D4A
	v_mul_f32_e32 v75, v75, v7                                 // 000000004B50: 0A960F4B
	v_mul_f32_e32 v72, v72, v92                                // 000000004B54: 0A90B948
	v_mul_f32_e32 v73, v73, v93                                // 000000004B58: 0A92BB49
	v_mul_f32_e32 v74, v74, v94                                // 000000004B5C: 0A94BD4A
	v_mul_f32_e32 v75, v75, v95                                // 000000004B60: 0A96BF4B
	v_mul_f32_e64 v4, -v76, s6                                 // 000000004B64: D1050004 20000D4C
	v_mul_f32_e64 v5, -v77, s6                                 // 000000004B6C: D1050005 20000D4D
	v_mul_f32_e64 v6, -v78, s6                                 // 000000004B74: D1050006 20000D4E
	v_mul_f32_e64 v7, -v79, s6                                 // 000000004B7C: D1050007 20000D4F
	v_exp_f32_e32 v4, v4                                       // 000000004B84: 7E084104
	v_exp_f32_e32 v5, v5                                       // 000000004B88: 7E0A4105
	v_exp_f32_e32 v6, v6                                       // 000000004B8C: 7E0C4106
	v_exp_f32_e32 v7, v7                                       // 000000004B90: 7E0E4107
	v_add_f32_e64 v4, v4, 1.0                                  // 000000004B94: D1010004 0001E504
	v_add_f32_e64 v5, v5, 1.0                                  // 000000004B9C: D1010005 0001E505
	v_add_f32_e64 v6, v6, 1.0                                  // 000000004BA4: D1010006 0001E506
	v_add_f32_e64 v7, v7, 1.0                                  // 000000004BAC: D1010007 0001E507
	v_rcp_f32_e32 v4, v4                                       // 000000004BB4: 7E084504
	v_rcp_f32_e32 v5, v5                                       // 000000004BB8: 7E0A4505
	v_rcp_f32_e32 v6, v6                                       // 000000004BBC: 7E0C4506
	v_rcp_f32_e32 v7, v7                                       // 000000004BC0: 7E0E4507
	v_mul_f32_e32 v76, v76, v4                                 // 000000004BC4: 0A98094C
	v_mul_f32_e32 v77, v77, v5                                 // 000000004BC8: 0A9A0B4D
	v_mul_f32_e32 v78, v78, v6                                 // 000000004BCC: 0A9C0D4E
	v_mul_f32_e32 v79, v79, v7                                 // 000000004BD0: 0A9E0F4F
	v_mul_f32_e32 v76, v76, v96                                // 000000004BD4: 0A98C14C
	v_mul_f32_e32 v77, v77, v97                                // 000000004BD8: 0A9AC34D
	v_mul_f32_e32 v78, v78, v98                                // 000000004BDC: 0A9CC54E
	v_mul_f32_e32 v79, v79, v99                                // 000000004BE0: 0A9EC74F
	v_mul_f32_e64 v4, -v80, s6                                 // 000000004BE4: D1050004 20000D50
	v_mul_f32_e64 v5, -v81, s6                                 // 000000004BEC: D1050005 20000D51
	v_mul_f32_e64 v6, -v82, s6                                 // 000000004BF4: D1050006 20000D52
	v_mul_f32_e64 v7, -v83, s6                                 // 000000004BFC: D1050007 20000D53
	v_exp_f32_e32 v4, v4                                       // 000000004C04: 7E084104
	v_exp_f32_e32 v5, v5                                       // 000000004C08: 7E0A4105
	v_exp_f32_e32 v6, v6                                       // 000000004C0C: 7E0C4106
	v_exp_f32_e32 v7, v7                                       // 000000004C10: 7E0E4107
	v_add_f32_e64 v4, v4, 1.0                                  // 000000004C14: D1010004 0001E504
	v_add_f32_e64 v5, v5, 1.0                                  // 000000004C1C: D1010005 0001E505
	v_add_f32_e64 v6, v6, 1.0                                  // 000000004C24: D1010006 0001E506
	v_add_f32_e64 v7, v7, 1.0                                  // 000000004C2C: D1010007 0001E507
	v_rcp_f32_e32 v4, v4                                       // 000000004C34: 7E084504
	v_rcp_f32_e32 v5, v5                                       // 000000004C38: 7E0A4505
	v_rcp_f32_e32 v6, v6                                       // 000000004C3C: 7E0C4506
	v_rcp_f32_e32 v7, v7                                       // 000000004C40: 7E0E4507
	v_mul_f32_e32 v80, v80, v4                                 // 000000004C44: 0AA00950
	v_mul_f32_e32 v81, v81, v5                                 // 000000004C48: 0AA20B51
	v_mul_f32_e32 v82, v82, v6                                 // 000000004C4C: 0AA40D52
	v_mul_f32_e32 v83, v83, v7                                 // 000000004C50: 0AA60F53
	v_mul_f32_e32 v80, v80, v100                               // 000000004C54: 0AA0C950
	v_mul_f32_e32 v81, v81, v101                               // 000000004C58: 0AA2CB51
	v_mul_f32_e32 v82, v82, v102                               // 000000004C5C: 0AA4CD52
	v_mul_f32_e32 v83, v83, v103                               // 000000004C60: 0AA6CF53

0000000000004c64 <label_0899>:
	v_cmp_u_f32_e64 s[46:47], v64, v64                         // 000000004C64: D048002E 00028140
	v_add3_u32 v16, v64, v19, 1                                // 000000004C6C: D1FF0010 02062740
	v_cndmask_b32_e64 v4, v16, v18, s[46:47]                   // 000000004C74: D1000004 00BA2510
	v_cmp_u_f32_e64 s[46:47], v65, v65                         // 000000004C7C: D048002E 00028341
	v_add3_u32 v16, v65, v19, 1                                // 000000004C84: D1FF0010 02062741
	v_cndmask_b32_e64 v5, v16, v18, s[46:47]                   // 000000004C8C: D1000005 00BA2510
	v_perm_b32 v64, v5, v4, s52                                // 000000004C94: D1ED0040 00D20905
	v_cmp_u_f32_e64 s[46:47], v66, v66                         // 000000004C9C: D048002E 00028542
	v_add3_u32 v16, v66, v19, 1                                // 000000004CA4: D1FF0010 02062742
	v_cndmask_b32_e64 v4, v16, v18, s[46:47]                   // 000000004CAC: D1000004 00BA2510
	v_cmp_u_f32_e64 s[46:47], v67, v67                         // 000000004CB4: D048002E 00028743
	v_add3_u32 v16, v67, v19, 1                                // 000000004CBC: D1FF0010 02062743
	v_cndmask_b32_e64 v5, v16, v18, s[46:47]                   // 000000004CC4: D1000005 00BA2510
	v_perm_b32 v65, v5, v4, s52                                // 000000004CCC: D1ED0041 00D20905
	v_cmp_u_f32_e64 s[46:47], v68, v68                         // 000000004CD4: D048002E 00028944
	v_add3_u32 v16, v68, v19, 1                                // 000000004CDC: D1FF0010 02062744
	v_cndmask_b32_e64 v4, v16, v18, s[46:47]                   // 000000004CE4: D1000004 00BA2510
	v_cmp_u_f32_e64 s[46:47], v69, v69                         // 000000004CEC: D048002E 00028B45
	v_add3_u32 v16, v69, v19, 1                                // 000000004CF4: D1FF0010 02062745
	v_cndmask_b32_e64 v5, v16, v18, s[46:47]                   // 000000004CFC: D1000005 00BA2510
	v_perm_b32 v66, v5, v4, s52                                // 000000004D04: D1ED0042 00D20905
	v_cmp_u_f32_e64 s[46:47], v70, v70                         // 000000004D0C: D048002E 00028D46
	v_add3_u32 v16, v70, v19, 1                                // 000000004D14: D1FF0010 02062746
	v_cndmask_b32_e64 v4, v16, v18, s[46:47]                   // 000000004D1C: D1000004 00BA2510
	v_cmp_u_f32_e64 s[46:47], v71, v71                         // 000000004D24: D048002E 00028F47
	v_add3_u32 v16, v71, v19, 1                                // 000000004D2C: D1FF0010 02062747
	v_cndmask_b32_e64 v5, v16, v18, s[46:47]                   // 000000004D34: D1000005 00BA2510
	v_perm_b32 v67, v5, v4, s52                                // 000000004D3C: D1ED0043 00D20905
	v_cmp_u_f32_e64 s[46:47], v72, v72                         // 000000004D44: D048002E 00029148
	v_add3_u32 v16, v72, v19, 1                                // 000000004D4C: D1FF0010 02062748
	v_cndmask_b32_e64 v4, v16, v18, s[46:47]                   // 000000004D54: D1000004 00BA2510
	v_cmp_u_f32_e64 s[46:47], v73, v73                         // 000000004D5C: D048002E 00029349
	v_add3_u32 v16, v73, v19, 1                                // 000000004D64: D1FF0010 02062749
	v_cndmask_b32_e64 v5, v16, v18, s[46:47]                   // 000000004D6C: D1000005 00BA2510
	v_perm_b32 v68, v5, v4, s52                                // 000000004D74: D1ED0044 00D20905
	v_cmp_u_f32_e64 s[46:47], v74, v74                         // 000000004D7C: D048002E 0002954A
	v_add3_u32 v16, v74, v19, 1                                // 000000004D84: D1FF0010 0206274A
	v_cndmask_b32_e64 v4, v16, v18, s[46:47]                   // 000000004D8C: D1000004 00BA2510
	v_cmp_u_f32_e64 s[46:47], v75, v75                         // 000000004D94: D048002E 0002974B
	v_add3_u32 v16, v75, v19, 1                                // 000000004D9C: D1FF0010 0206274B
	v_cndmask_b32_e64 v5, v16, v18, s[46:47]                   // 000000004DA4: D1000005 00BA2510
	v_perm_b32 v69, v5, v4, s52                                // 000000004DAC: D1ED0045 00D20905
	v_cmp_u_f32_e64 s[46:47], v76, v76                         // 000000004DB4: D048002E 0002994C
	v_add3_u32 v16, v76, v19, 1                                // 000000004DBC: D1FF0010 0206274C
	v_cndmask_b32_e64 v4, v16, v18, s[46:47]                   // 000000004DC4: D1000004 00BA2510
	v_cmp_u_f32_e64 s[46:47], v77, v77                         // 000000004DCC: D048002E 00029B4D
	v_add3_u32 v16, v77, v19, 1                                // 000000004DD4: D1FF0010 0206274D
	v_cndmask_b32_e64 v5, v16, v18, s[46:47]                   // 000000004DDC: D1000005 00BA2510
	v_perm_b32 v70, v5, v4, s52                                // 000000004DE4: D1ED0046 00D20905
	v_cmp_u_f32_e64 s[46:47], v78, v78                         // 000000004DEC: D048002E 00029D4E
	v_add3_u32 v16, v78, v19, 1                                // 000000004DF4: D1FF0010 0206274E
	v_cndmask_b32_e64 v4, v16, v18, s[46:47]                   // 000000004DFC: D1000004 00BA2510
	v_cmp_u_f32_e64 s[46:47], v79, v79                         // 000000004E04: D048002E 00029F4F
	v_add3_u32 v16, v79, v19, 1                                // 000000004E0C: D1FF0010 0206274F
	v_cndmask_b32_e64 v5, v16, v18, s[46:47]                   // 000000004E14: D1000005 00BA2510
	v_perm_b32 v71, v5, v4, s52                                // 000000004E1C: D1ED0047 00D20905
	v_cmp_u_f32_e64 s[46:47], v80, v80                         // 000000004E24: D048002E 0002A150
	v_add3_u32 v16, v80, v19, 1                                // 000000004E2C: D1FF0010 02062750
	v_cndmask_b32_e64 v4, v16, v18, s[46:47]                   // 000000004E34: D1000004 00BA2510
	v_cmp_u_f32_e64 s[46:47], v81, v81                         // 000000004E3C: D048002E 0002A351
	v_add3_u32 v16, v81, v19, 1                                // 000000004E44: D1FF0010 02062751
	v_cndmask_b32_e64 v5, v16, v18, s[46:47]                   // 000000004E4C: D1000005 00BA2510
	v_perm_b32 v72, v5, v4, s52                                // 000000004E54: D1ED0048 00D20905
	v_cmp_u_f32_e64 s[46:47], v82, v82                         // 000000004E5C: D048002E 0002A552
	v_add3_u32 v16, v82, v19, 1                                // 000000004E64: D1FF0010 02062752
	v_cndmask_b32_e64 v4, v16, v18, s[46:47]                   // 000000004E6C: D1000004 00BA2510
	v_cmp_u_f32_e64 s[46:47], v83, v83                         // 000000004E74: D048002E 0002A753
	v_add3_u32 v16, v83, v19, 1                                // 000000004E7C: D1FF0010 02062753
	v_cndmask_b32_e64 v5, v16, v18, s[46:47]                   // 000000004E84: D1000005 00BA2510
	v_perm_b32 v73, v5, v4, s52                                // 000000004E8C: D1ED0049 00D20905
	ds_write_b64 v20, v[64:65]                                 // 000000004E94: D89A0000 00004014
	ds_write_b64 v20, v[66:67] offset:2176                     // 000000004E9C: D89A0880 00004214
	ds_write_b64 v20, v[68:69] offset:4352                     // 000000004EA4: D89A1100 00004414
	ds_write_b64 v20, v[70:71] offset:6528                     // 000000004EAC: D89A1980 00004614
	ds_write_b64 v20, v[72:73] offset:8704                     // 000000004EB4: D89A2200 00004814
	v_lshrrev_b32_e32 v4, 5, v0                                // 000000004EBC: 20080085
	v_xor_b32_e32 v5, 1, v4                                    // 000000004EC0: 2A0A0881
	s_mul_i32 s60, s65, 2                                      // 000000004EC4: 923C8241
	s_cmp_eq_u32 s88, 0                                        // 000000004EC8: BF068058
	s_cselect_b32 s61, 1, 4                                    // 000000004ECC: 853D8481
	s_mul_i32 s60, s61, s60                                    // 000000004ED0: 923C3C3D
	v_readlane_b32 s82, v3, 0                                  // 000000004ED4: D2890052 00010103
	s_lshr_b32 s61, s82, 24                                    // 000000004EDC: 8F3D9852
	s_and_b32 s82, s82, 0xffffff                               // 000000004EE0: 8652FF52 00FFFFFF
	s_mul_i32 s82, s82, s71                                    // 000000004EE8: 92524752
	s_mul_i32 s61, s60, s61                                    // 000000004EEC: 923D3D3C
	s_add_u32 s82, s82, s61                                    // 000000004EF0: 80523D52
	v_mul_lo_u32 v6, v5, s82                                   // 000000004EF4: D2850006 0000A505
	v_readlane_b32 s82, v3, 1                                  // 000000004EFC: D2890052 00010303
	s_lshr_b32 s61, s82, 24                                    // 000000004F04: 8F3D9852
	s_and_b32 s82, s82, 0xffffff                               // 000000004F08: 8652FF52 00FFFFFF
	s_mul_i32 s82, s82, s71                                    // 000000004F10: 92524752
	s_mul_i32 s61, s60, s61                                    // 000000004F14: 923D3D3C
	s_add_u32 s82, s82, s61                                    // 000000004F18: 80523D52
	v_mul_lo_u32 v7, v4, s82                                   // 000000004F1C: D2850007 0000A504
	v_add_u32_e32 v50, v6, v7                                  // 000000004F24: 68640F06
	v_readlane_b32 s82, v3, 2                                  // 000000004F28: D2890052 00010503
	s_lshr_b32 s61, s82, 24                                    // 000000004F30: 8F3D9852
	s_and_b32 s82, s82, 0xffffff                               // 000000004F34: 8652FF52 00FFFFFF
	s_mul_i32 s82, s82, s71                                    // 000000004F3C: 92524752
	s_mul_i32 s61, s60, s61                                    // 000000004F40: 923D3D3C
	s_add_u32 s82, s82, s61                                    // 000000004F44: 80523D52
	v_mul_lo_u32 v6, v5, s82                                   // 000000004F48: D2850006 0000A505
	v_readlane_b32 s82, v3, 3                                  // 000000004F50: D2890052 00010703
	s_lshr_b32 s61, s82, 24                                    // 000000004F58: 8F3D9852
	s_and_b32 s82, s82, 0xffffff                               // 000000004F5C: 8652FF52 00FFFFFF
	s_mul_i32 s82, s82, s71                                    // 000000004F64: 92524752
	s_mul_i32 s61, s60, s61                                    // 000000004F68: 923D3D3C
	s_add_u32 s82, s82, s61                                    // 000000004F6C: 80523D52
	v_mul_lo_u32 v7, v4, s82                                   // 000000004F70: D2850007 0000A504
	v_add_u32_e32 v51, v6, v7                                  // 000000004F78: 68660F06
	v_readlane_b32 s82, v3, 4                                  // 000000004F7C: D2890052 00010903
	s_lshr_b32 s61, s82, 24                                    // 000000004F84: 8F3D9852
	s_and_b32 s82, s82, 0xffffff                               // 000000004F88: 8652FF52 00FFFFFF
	s_mul_i32 s82, s82, s71                                    // 000000004F90: 92524752
	s_mul_i32 s61, s60, s61                                    // 000000004F94: 923D3D3C
	s_add_u32 s82, s82, s61                                    // 000000004F98: 80523D52
	v_mul_lo_u32 v6, v5, s82                                   // 000000004F9C: D2850006 0000A505
	v_readlane_b32 s82, v3, 5                                  // 000000004FA4: D2890052 00010B03
	s_lshr_b32 s61, s82, 24                                    // 000000004FAC: 8F3D9852
	s_and_b32 s82, s82, 0xffffff                               // 000000004FB0: 8652FF52 00FFFFFF
	s_mul_i32 s82, s82, s71                                    // 000000004FB8: 92524752
	s_mul_i32 s61, s60, s61                                    // 000000004FBC: 923D3D3C
	s_add_u32 s82, s82, s61                                    // 000000004FC0: 80523D52
	v_mul_lo_u32 v7, v4, s82                                   // 000000004FC4: D2850007 0000A504
	v_add_u32_e32 v52, v6, v7                                  // 000000004FCC: 68680F06
	v_readlane_b32 s82, v3, 6                                  // 000000004FD0: D2890052 00010D03
	s_lshr_b32 s61, s82, 24                                    // 000000004FD8: 8F3D9852
	s_and_b32 s82, s82, 0xffffff                               // 000000004FDC: 8652FF52 00FFFFFF
	s_mul_i32 s82, s82, s71                                    // 000000004FE4: 92524752
	s_mul_i32 s61, s60, s61                                    // 000000004FE8: 923D3D3C
	s_add_u32 s82, s82, s61                                    // 000000004FEC: 80523D52
	v_mul_lo_u32 v6, v5, s82                                   // 000000004FF0: D2850006 0000A505
	v_readlane_b32 s82, v3, 7                                  // 000000004FF8: D2890052 00010F03
	s_lshr_b32 s61, s82, 24                                    // 000000005000: 8F3D9852
	s_and_b32 s82, s82, 0xffffff                               // 000000005004: 8652FF52 00FFFFFF
	s_mul_i32 s82, s82, s71                                    // 00000000500C: 92524752
	s_mul_i32 s61, s60, s61                                    // 000000005010: 923D3D3C
	s_add_u32 s82, s82, s61                                    // 000000005014: 80523D52
	v_mul_lo_u32 v7, v4, s82                                   // 000000005018: D2850007 0000A504
	v_add_u32_e32 v53, v6, v7                                  // 000000005020: 686A0F06
	v_readlane_b32 s82, v3, 8                                  // 000000005024: D2890052 00011103
	s_lshr_b32 s61, s82, 24                                    // 00000000502C: 8F3D9852
	s_and_b32 s82, s82, 0xffffff                               // 000000005030: 8652FF52 00FFFFFF
	s_mul_i32 s82, s82, s71                                    // 000000005038: 92524752
	s_mul_i32 s61, s60, s61                                    // 00000000503C: 923D3D3C
	s_add_u32 s82, s82, s61                                    // 000000005040: 80523D52
	v_mul_lo_u32 v6, v5, s82                                   // 000000005044: D2850006 0000A505
	v_readlane_b32 s82, v3, 9                                  // 00000000504C: D2890052 00011303
	s_lshr_b32 s61, s82, 24                                    // 000000005054: 8F3D9852
	s_and_b32 s82, s82, 0xffffff                               // 000000005058: 8652FF52 00FFFFFF
	s_mul_i32 s82, s82, s71                                    // 000000005060: 92524752
	s_mul_i32 s61, s60, s61                                    // 000000005064: 923D3D3C
	s_add_u32 s82, s82, s61                                    // 000000005068: 80523D52
	v_mul_lo_u32 v7, v4, s82                                   // 00000000506C: D2850007 0000A504
	v_add_u32_e32 v54, v6, v7                                  // 000000005074: 686C0F06
	v_readlane_b32 s82, v3, 10                                 // 000000005078: D2890052 00011503
	s_lshr_b32 s61, s82, 24                                    // 000000005080: 8F3D9852
	s_and_b32 s82, s82, 0xffffff                               // 000000005084: 8652FF52 00FFFFFF
	s_mul_i32 s82, s82, s71                                    // 00000000508C: 92524752
	s_mul_i32 s61, s60, s61                                    // 000000005090: 923D3D3C
	s_add_u32 s82, s82, s61                                    // 000000005094: 80523D52
	v_mul_lo_u32 v6, v5, s82                                   // 000000005098: D2850006 0000A505
	v_readlane_b32 s82, v3, 11                                 // 0000000050A0: D2890052 00011703
	s_lshr_b32 s61, s82, 24                                    // 0000000050A8: 8F3D9852
	s_and_b32 s82, s82, 0xffffff                               // 0000000050AC: 8652FF52 00FFFFFF
	s_mul_i32 s82, s82, s71                                    // 0000000050B4: 92524752
	s_mul_i32 s61, s60, s61                                    // 0000000050B8: 923D3D3C
	s_add_u32 s82, s82, s61                                    // 0000000050BC: 80523D52
	v_mul_lo_u32 v7, v4, s82                                   // 0000000050C0: D2850007 0000A504
	v_add_u32_e32 v55, v6, v7                                  // 0000000050C8: 686E0F06
	v_readlane_b32 s82, v3, 12                                 // 0000000050CC: D2890052 00011903
	s_lshr_b32 s61, s82, 24                                    // 0000000050D4: 8F3D9852
	s_and_b32 s82, s82, 0xffffff                               // 0000000050D8: 8652FF52 00FFFFFF
	s_mul_i32 s82, s82, s71                                    // 0000000050E0: 92524752
	s_mul_i32 s61, s60, s61                                    // 0000000050E4: 923D3D3C
	s_add_u32 s82, s82, s61                                    // 0000000050E8: 80523D52
	v_mul_lo_u32 v6, v5, s82                                   // 0000000050EC: D2850006 0000A505
	v_readlane_b32 s82, v3, 13                                 // 0000000050F4: D2890052 00011B03
	s_lshr_b32 s61, s82, 24                                    // 0000000050FC: 8F3D9852
	s_and_b32 s82, s82, 0xffffff                               // 000000005100: 8652FF52 00FFFFFF
	s_mul_i32 s82, s82, s71                                    // 000000005108: 92524752
	s_mul_i32 s61, s60, s61                                    // 00000000510C: 923D3D3C
	s_add_u32 s82, s82, s61                                    // 000000005110: 80523D52
	v_mul_lo_u32 v7, v4, s82                                   // 000000005114: D2850007 0000A504
	v_add_u32_e32 v56, v6, v7                                  // 00000000511C: 68700F06
	v_readlane_b32 s82, v3, 14                                 // 000000005120: D2890052 00011D03
	s_lshr_b32 s61, s82, 24                                    // 000000005128: 8F3D9852
	s_and_b32 s82, s82, 0xffffff                               // 00000000512C: 8652FF52 00FFFFFF
	s_mul_i32 s82, s82, s71                                    // 000000005134: 92524752
	s_mul_i32 s61, s60, s61                                    // 000000005138: 923D3D3C
	s_add_u32 s82, s82, s61                                    // 00000000513C: 80523D52
	v_mul_lo_u32 v6, v5, s82                                   // 000000005140: D2850006 0000A505
	v_readlane_b32 s82, v3, 15                                 // 000000005148: D2890052 00011F03
	s_lshr_b32 s61, s82, 24                                    // 000000005150: 8F3D9852
	s_and_b32 s82, s82, 0xffffff                               // 000000005154: 8652FF52 00FFFFFF
	s_mul_i32 s82, s82, s71                                    // 00000000515C: 92524752
	s_mul_i32 s61, s60, s61                                    // 000000005160: 923D3D3C
	s_add_u32 s82, s82, s61                                    // 000000005164: 80523D52
	v_mul_lo_u32 v7, v4, s82                                   // 000000005168: D2850007 0000A504
	v_add_u32_e32 v57, v6, v7                                  // 000000005170: 68720F06
	v_readlane_b32 s82, v3, 16                                 // 000000005174: D2890052 00012103
	s_lshr_b32 s61, s82, 24                                    // 00000000517C: 8F3D9852
	s_and_b32 s82, s82, 0xffffff                               // 000000005180: 8652FF52 00FFFFFF
	s_mul_i32 s82, s82, s71                                    // 000000005188: 92524752
	s_mul_i32 s61, s60, s61                                    // 00000000518C: 923D3D3C
	s_add_u32 s82, s82, s61                                    // 000000005190: 80523D52
	v_mul_lo_u32 v6, v5, s82                                   // 000000005194: D2850006 0000A505
	v_readlane_b32 s82, v3, 17                                 // 00000000519C: D2890052 00012303
	s_lshr_b32 s61, s82, 24                                    // 0000000051A4: 8F3D9852
	s_and_b32 s82, s82, 0xffffff                               // 0000000051A8: 8652FF52 00FFFFFF
	s_mul_i32 s82, s82, s71                                    // 0000000051B0: 92524752
	s_mul_i32 s61, s60, s61                                    // 0000000051B4: 923D3D3C
	s_add_u32 s82, s82, s61                                    // 0000000051B8: 80523D52
	v_mul_lo_u32 v7, v4, s82                                   // 0000000051BC: D2850007 0000A504
	v_add_u32_e32 v58, v6, v7                                  // 0000000051C4: 68740F06
	v_readlane_b32 s82, v3, 18                                 // 0000000051C8: D2890052 00012503
	s_lshr_b32 s61, s82, 24                                    // 0000000051D0: 8F3D9852
	s_and_b32 s82, s82, 0xffffff                               // 0000000051D4: 8652FF52 00FFFFFF
	s_mul_i32 s82, s82, s71                                    // 0000000051DC: 92524752
	s_mul_i32 s61, s60, s61                                    // 0000000051E0: 923D3D3C
	s_add_u32 s82, s82, s61                                    // 0000000051E4: 80523D52
	v_mul_lo_u32 v6, v5, s82                                   // 0000000051E8: D2850006 0000A505
	v_readlane_b32 s82, v3, 19                                 // 0000000051F0: D2890052 00012703
	s_lshr_b32 s61, s82, 24                                    // 0000000051F8: 8F3D9852
	s_and_b32 s82, s82, 0xffffff                               // 0000000051FC: 8652FF52 00FFFFFF
	s_mul_i32 s82, s82, s71                                    // 000000005204: 92524752
	s_mul_i32 s61, s60, s61                                    // 000000005208: 923D3D3C
	s_add_u32 s82, s82, s61                                    // 00000000520C: 80523D52
	v_mul_lo_u32 v7, v4, s82                                   // 000000005210: D2850007 0000A504
	v_add_u32_e32 v59, v6, v7                                  // 000000005218: 68760F06
	v_and_b32_e32 v4, 31, v0                                   // 00000000521C: 2608009F
	v_lshrrev_b32_e32 v4, 1, v4                                // 000000005220: 20080881
	s_cmp_eq_u32 s88, 0                                        // 000000005224: BF068058
	s_cselect_b32 s61, 2, 4                                    // 000000005228: 853D8482
	v_mul_lo_u32 v4, v4, s61                                   // 00000000522C: D2850004 00007B04
	v_and_b32_e64 v5, v0, 1                                    // 000000005234: D1130005 00010300
	v_add_u32_e32 v4, v4, v5                                   // 00000000523C: 68080B04
	v_lshlrev_b32_e32 v4, 2, v4                                // 000000005240: 24080882
	v_add_u32_e32 v50, v50, v4                                 // 000000005244: 68640932
	v_add_u32_e32 v51, v51, v4                                 // 000000005248: 68660933
	v_add_u32_e32 v52, v52, v4                                 // 00000000524C: 68680934
	v_add_u32_e32 v53, v53, v4                                 // 000000005250: 686A0935
	v_add_u32_e32 v54, v54, v4                                 // 000000005254: 686C0936
	v_add_u32_e32 v55, v55, v4                                 // 000000005258: 686E0937
	v_add_u32_e32 v56, v56, v4                                 // 00000000525C: 68700938
	v_add_u32_e32 v57, v57, v4                                 // 000000005260: 68720939
	v_add_u32_e32 v58, v58, v4                                 // 000000005264: 6874093A
	v_add_u32_e32 v59, v59, v4                                 // 000000005268: 6876093B
	s_waitcnt lgkmcnt(0)                                       // 00000000526C: BF8CC07F
	s_barrier                                                  // 000000005270: BF8A0000
	ds_read_b32 v64, v21                                       // 000000005274: D86C0000 40000015
	ds_read_b32 v65, v21 offset:64                             // 00000000527C: D86C0040 41000015
	ds_read_b32 v66, v21 offset:2176                           // 000000005284: D86C0880 42000015
	ds_read_b32 v67, v21 offset:2240                           // 00000000528C: D86C08C0 43000015
	ds_read_b32 v68, v21 offset:4352                           // 000000005294: D86C1100 44000015
	ds_read_b32 v69, v21 offset:4416                           // 00000000529C: D86C1140 45000015
	ds_read_b32 v70, v21 offset:6528                           // 0000000052A4: D86C1980 46000015
	ds_read_b32 v71, v21 offset:6592                           // 0000000052AC: D86C19C0 47000015
	ds_read_b32 v72, v21 offset:8704                           // 0000000052B4: D86C2200 48000015
	ds_read_b32 v73, v21 offset:8768                           // 0000000052BC: D86C2240 49000015
	s_waitcnt lgkmcnt(0)                                       // 0000000052C4: BF8CC07F
	s_mov_b32 s36, -1                                          // 0000000052C8: BEA400C1
	s_mov_b32 s37, -1                                          // 0000000052CC: BEA500C1
	v_mov_b32_e32 v7, 0                                        // 0000000052D0: 7E0E0280
	s_or_b32 s9, s9, 0x40000                                   // 0000000052D4: 8709FF09 00040000
	s_mov_b64 exec, s[36:37]                                   // 0000000052DC: BEFE0124
	v_mov_b32_e32 v6, v50                                      // 0000000052E0: 7E0C0332
	s_mov_b64 s[60:61], 0                                      // 0000000052E4: BEBC0180
	v_readlane_b32 s82, v3, 0                                  // 0000000052E8: D2890052 00010103
	s_and_b32 s82, s82, 0xffffff                               // 0000000052F0: 8652FF52 00FFFFFF
	s_cmp_lt_u32 s82, s66                                      // 0000000052F8: BF0A4252
	s_cselect_b32 s20, s36, s60                                // 0000000052FC: 85143C24
	v_readlane_b32 s82, v3, 1                                  // 000000005300: D2890052 00010303
	s_and_b32 s82, s82, 0xffffff                               // 000000005308: 8652FF52 00FFFFFF
	s_cmp_lt_u32 s82, s66                                      // 000000005310: BF0A4252
	s_cselect_b32 s21, s36, s60                                // 000000005314: 85153C24
	s_mov_b64 exec, s[20:21]                                   // 000000005318: BEFE0114
	buffer_store_dword v64, v6, s[8:11], 0 offen               // 00000000531C: E0701000 80024006
	s_mov_b64 exec, s[36:37]                                   // 000000005324: BEFE0124
	v_mov_b32_e32 v6, v51                                      // 000000005328: 7E0C0333
	s_mov_b64 s[60:61], 0                                      // 00000000532C: BEBC0180
	v_readlane_b32 s82, v3, 2                                  // 000000005330: D2890052 00010503
	s_and_b32 s82, s82, 0xffffff                               // 000000005338: 8652FF52 00FFFFFF
	s_cmp_lt_u32 s82, s66                                      // 000000005340: BF0A4252
	s_cselect_b32 s20, s36, s60                                // 000000005344: 85143C24
	v_readlane_b32 s82, v3, 3                                  // 000000005348: D2890052 00010703
	s_and_b32 s82, s82, 0xffffff                               // 000000005350: 8652FF52 00FFFFFF
	s_cmp_lt_u32 s82, s66                                      // 000000005358: BF0A4252
	s_cselect_b32 s21, s36, s60                                // 00000000535C: 85153C24
	s_mov_b64 exec, s[20:21]                                   // 000000005360: BEFE0114
	buffer_store_dword v65, v6, s[8:11], 0 offen               // 000000005364: E0701000 80024106
	s_mov_b64 exec, s[36:37]                                   // 00000000536C: BEFE0124
	v_mov_b32_e32 v6, v52                                      // 000000005370: 7E0C0334
	s_mov_b64 s[60:61], 0                                      // 000000005374: BEBC0180
	v_readlane_b32 s82, v3, 4                                  // 000000005378: D2890052 00010903
	s_and_b32 s82, s82, 0xffffff                               // 000000005380: 8652FF52 00FFFFFF
	s_cmp_lt_u32 s82, s66                                      // 000000005388: BF0A4252
	s_cselect_b32 s20, s36, s60                                // 00000000538C: 85143C24
	v_readlane_b32 s82, v3, 5                                  // 000000005390: D2890052 00010B03
	s_and_b32 s82, s82, 0xffffff                               // 000000005398: 8652FF52 00FFFFFF
	s_cmp_lt_u32 s82, s66                                      // 0000000053A0: BF0A4252
	s_cselect_b32 s21, s36, s60                                // 0000000053A4: 85153C24
	s_mov_b64 exec, s[20:21]                                   // 0000000053A8: BEFE0114
	buffer_store_dword v66, v6, s[8:11], 0 offen               // 0000000053AC: E0701000 80024206
	s_mov_b64 exec, s[36:37]                                   // 0000000053B4: BEFE0124
	v_mov_b32_e32 v6, v53                                      // 0000000053B8: 7E0C0335
	s_mov_b64 s[60:61], 0                                      // 0000000053BC: BEBC0180
	v_readlane_b32 s82, v3, 6                                  // 0000000053C0: D2890052 00010D03
	s_and_b32 s82, s82, 0xffffff                               // 0000000053C8: 8652FF52 00FFFFFF
	s_cmp_lt_u32 s82, s66                                      // 0000000053D0: BF0A4252
	s_cselect_b32 s20, s36, s60                                // 0000000053D4: 85143C24
	v_readlane_b32 s82, v3, 7                                  // 0000000053D8: D2890052 00010F03
	s_and_b32 s82, s82, 0xffffff                               // 0000000053E0: 8652FF52 00FFFFFF
	s_cmp_lt_u32 s82, s66                                      // 0000000053E8: BF0A4252
	s_cselect_b32 s21, s36, s60                                // 0000000053EC: 85153C24
	s_mov_b64 exec, s[20:21]                                   // 0000000053F0: BEFE0114
	buffer_store_dword v67, v6, s[8:11], 0 offen               // 0000000053F4: E0701000 80024306
	s_mov_b64 exec, s[36:37]                                   // 0000000053FC: BEFE0124
	v_mov_b32_e32 v6, v54                                      // 000000005400: 7E0C0336
	s_mov_b64 s[60:61], 0                                      // 000000005404: BEBC0180
	v_readlane_b32 s82, v3, 8                                  // 000000005408: D2890052 00011103
	s_and_b32 s82, s82, 0xffffff                               // 000000005410: 8652FF52 00FFFFFF
	s_cmp_lt_u32 s82, s66                                      // 000000005418: BF0A4252
	s_cselect_b32 s20, s36, s60                                // 00000000541C: 85143C24
	v_readlane_b32 s82, v3, 9                                  // 000000005420: D2890052 00011303
	s_and_b32 s82, s82, 0xffffff                               // 000000005428: 8652FF52 00FFFFFF
	s_cmp_lt_u32 s82, s66                                      // 000000005430: BF0A4252
	s_cselect_b32 s21, s36, s60                                // 000000005434: 85153C24
	s_mov_b64 exec, s[20:21]                                   // 000000005438: BEFE0114
	buffer_store_dword v68, v6, s[8:11], 0 offen               // 00000000543C: E0701000 80024406
	s_mov_b64 exec, s[36:37]                                   // 000000005444: BEFE0124
	v_mov_b32_e32 v6, v55                                      // 000000005448: 7E0C0337
	s_mov_b64 s[60:61], 0                                      // 00000000544C: BEBC0180
	v_readlane_b32 s82, v3, 10                                 // 000000005450: D2890052 00011503
	s_and_b32 s82, s82, 0xffffff                               // 000000005458: 8652FF52 00FFFFFF
	s_cmp_lt_u32 s82, s66                                      // 000000005460: BF0A4252
	s_cselect_b32 s20, s36, s60                                // 000000005464: 85143C24
	v_readlane_b32 s82, v3, 11                                 // 000000005468: D2890052 00011703
	s_and_b32 s82, s82, 0xffffff                               // 000000005470: 8652FF52 00FFFFFF
	s_cmp_lt_u32 s82, s66                                      // 000000005478: BF0A4252
	s_cselect_b32 s21, s36, s60                                // 00000000547C: 85153C24
	s_mov_b64 exec, s[20:21]                                   // 000000005480: BEFE0114
	buffer_store_dword v69, v6, s[8:11], 0 offen               // 000000005484: E0701000 80024506
	s_mov_b64 exec, s[36:37]                                   // 00000000548C: BEFE0124
	v_mov_b32_e32 v6, v56                                      // 000000005490: 7E0C0338
	s_mov_b64 s[60:61], 0                                      // 000000005494: BEBC0180
	v_readlane_b32 s82, v3, 12                                 // 000000005498: D2890052 00011903
	s_and_b32 s82, s82, 0xffffff                               // 0000000054A0: 8652FF52 00FFFFFF
	s_cmp_lt_u32 s82, s66                                      // 0000000054A8: BF0A4252
	s_cselect_b32 s20, s36, s60                                // 0000000054AC: 85143C24
	v_readlane_b32 s82, v3, 13                                 // 0000000054B0: D2890052 00011B03
	s_and_b32 s82, s82, 0xffffff                               // 0000000054B8: 8652FF52 00FFFFFF
	s_cmp_lt_u32 s82, s66                                      // 0000000054C0: BF0A4252
	s_cselect_b32 s21, s36, s60                                // 0000000054C4: 85153C24
	s_mov_b64 exec, s[20:21]                                   // 0000000054C8: BEFE0114
	buffer_store_dword v70, v6, s[8:11], 0 offen               // 0000000054CC: E0701000 80024606
	s_mov_b64 exec, s[36:37]                                   // 0000000054D4: BEFE0124
	v_mov_b32_e32 v6, v57                                      // 0000000054D8: 7E0C0339
	s_mov_b64 s[60:61], 0                                      // 0000000054DC: BEBC0180
	v_readlane_b32 s82, v3, 14                                 // 0000000054E0: D2890052 00011D03
	s_and_b32 s82, s82, 0xffffff                               // 0000000054E8: 8652FF52 00FFFFFF
	s_cmp_lt_u32 s82, s66                                      // 0000000054F0: BF0A4252
	s_cselect_b32 s20, s36, s60                                // 0000000054F4: 85143C24
	v_readlane_b32 s82, v3, 15                                 // 0000000054F8: D2890052 00011F03
	s_and_b32 s82, s82, 0xffffff                               // 000000005500: 8652FF52 00FFFFFF
	s_cmp_lt_u32 s82, s66                                      // 000000005508: BF0A4252
	s_cselect_b32 s21, s36, s60                                // 00000000550C: 85153C24
	s_mov_b64 exec, s[20:21]                                   // 000000005510: BEFE0114
	buffer_store_dword v71, v6, s[8:11], 0 offen               // 000000005514: E0701000 80024706
	s_mov_b64 exec, s[36:37]                                   // 00000000551C: BEFE0124
	v_mov_b32_e32 v6, v58                                      // 000000005520: 7E0C033A
	s_mov_b64 s[60:61], 0                                      // 000000005524: BEBC0180
	v_readlane_b32 s82, v3, 16                                 // 000000005528: D2890052 00012103
	s_and_b32 s82, s82, 0xffffff                               // 000000005530: 8652FF52 00FFFFFF
	s_cmp_lt_u32 s82, s66                                      // 000000005538: BF0A4252
	s_cselect_b32 s20, s36, s60                                // 00000000553C: 85143C24
	v_readlane_b32 s82, v3, 17                                 // 000000005540: D2890052 00012303
	s_and_b32 s82, s82, 0xffffff                               // 000000005548: 8652FF52 00FFFFFF
	s_cmp_lt_u32 s82, s66                                      // 000000005550: BF0A4252
	s_cselect_b32 s21, s36, s60                                // 000000005554: 85153C24
	s_mov_b64 exec, s[20:21]                                   // 000000005558: BEFE0114
	buffer_store_dword v72, v6, s[8:11], 0 offen               // 00000000555C: E0701000 80024806
	s_mov_b64 exec, s[36:37]                                   // 000000005564: BEFE0124
	v_mov_b32_e32 v6, v59                                      // 000000005568: 7E0C033B
	s_mov_b64 s[60:61], 0                                      // 00000000556C: BEBC0180
	v_readlane_b32 s82, v3, 18                                 // 000000005570: D2890052 00012503
	s_and_b32 s82, s82, 0xffffff                               // 000000005578: 8652FF52 00FFFFFF
	s_cmp_lt_u32 s82, s66                                      // 000000005580: BF0A4252
	s_cselect_b32 s20, s36, s60                                // 000000005584: 85143C24
	v_readlane_b32 s82, v3, 19                                 // 000000005588: D2890052 00012703
	s_and_b32 s82, s82, 0xffffff                               // 000000005590: 8652FF52 00FFFFFF
	s_cmp_lt_u32 s82, s66                                      // 000000005598: BF0A4252
	s_cselect_b32 s21, s36, s60                                // 00000000559C: 85153C24
	s_mov_b64 exec, s[20:21]                                   // 0000000055A0: BEFE0114
	buffer_store_dword v73, v6, s[8:11], 0 offen               // 0000000055A4: E0701000 80024906
	s_mov_b64 exec, s[36:37]                                   // 0000000055AC: BEFE0124
	s_branch label_1BDB                                        // 0000000055B0: BF8210EB

00000000000055b4 <label_0AED>:
	ds_write_b64 v20, v[64:65]                                 // 0000000055B4: D89A0000 00004014
	ds_write_b64 v20, v[68:69] offset:2176                     // 0000000055BC: D89A0880 00004414
	ds_write_b64 v20, v[72:73] offset:4352                     // 0000000055C4: D89A1100 00004814
	ds_write_b64 v20, v[76:77] offset:6528                     // 0000000055CC: D89A1980 00004C14
	ds_write_b64 v20, v[80:81] offset:8704                     // 0000000055D4: D89A2200 00005014
	v_lshrrev_b32_e32 v4, 5, v0                                // 0000000055DC: 20080085
	v_xor_b32_e32 v5, 1, v4                                    // 0000000055E0: 2A0A0881
	s_mul_i32 s60, s65, 2                                      // 0000000055E4: 923C8241
	s_cmp_eq_u32 s88, 0                                        // 0000000055E8: BF068058
	s_cselect_b32 s61, 1, 4                                    // 0000000055EC: 853D8481
	s_mul_i32 s60, s61, s60                                    // 0000000055F0: 923C3C3D
	v_readlane_b32 s82, v3, 0                                  // 0000000055F4: D2890052 00010103
	s_lshr_b32 s61, s82, 24                                    // 0000000055FC: 8F3D9852
	s_and_b32 s82, s82, 0xffffff                               // 000000005600: 8652FF52 00FFFFFF
	s_mul_i32 s82, s82, s71                                    // 000000005608: 92524752
	s_mul_i32 s61, s60, s61                                    // 00000000560C: 923D3D3C
	s_add_u32 s82, s82, s61                                    // 000000005610: 80523D52
	v_mul_lo_u32 v6, v5, s82                                   // 000000005614: D2850006 0000A505
	v_readlane_b32 s82, v3, 1                                  // 00000000561C: D2890052 00010303
	s_lshr_b32 s61, s82, 24                                    // 000000005624: 8F3D9852
	s_and_b32 s82, s82, 0xffffff                               // 000000005628: 8652FF52 00FFFFFF
	s_mul_i32 s82, s82, s71                                    // 000000005630: 92524752
	s_mul_i32 s61, s60, s61                                    // 000000005634: 923D3D3C
	s_add_u32 s82, s82, s61                                    // 000000005638: 80523D52
	v_mul_lo_u32 v7, v4, s82                                   // 00000000563C: D2850007 0000A504
	v_add_u32_e32 v50, v6, v7                                  // 000000005644: 68640F06
	v_readlane_b32 s82, v3, 2                                  // 000000005648: D2890052 00010503
	s_lshr_b32 s61, s82, 24                                    // 000000005650: 8F3D9852
	s_and_b32 s82, s82, 0xffffff                               // 000000005654: 8652FF52 00FFFFFF
	s_mul_i32 s82, s82, s71                                    // 00000000565C: 92524752
	s_mul_i32 s61, s60, s61                                    // 000000005660: 923D3D3C
	s_add_u32 s82, s82, s61                                    // 000000005664: 80523D52
	v_mul_lo_u32 v6, v5, s82                                   // 000000005668: D2850006 0000A505
	v_readlane_b32 s82, v3, 3                                  // 000000005670: D2890052 00010703
	s_lshr_b32 s61, s82, 24                                    // 000000005678: 8F3D9852
	s_and_b32 s82, s82, 0xffffff                               // 00000000567C: 8652FF52 00FFFFFF
	s_mul_i32 s82, s82, s71                                    // 000000005684: 92524752
	s_mul_i32 s61, s60, s61                                    // 000000005688: 923D3D3C
	s_add_u32 s82, s82, s61                                    // 00000000568C: 80523D52
	v_mul_lo_u32 v7, v4, s82                                   // 000000005690: D2850007 0000A504
	v_add_u32_e32 v51, v6, v7                                  // 000000005698: 68660F06
	v_readlane_b32 s82, v3, 4                                  // 00000000569C: D2890052 00010903
	s_lshr_b32 s61, s82, 24                                    // 0000000056A4: 8F3D9852
	s_and_b32 s82, s82, 0xffffff                               // 0000000056A8: 8652FF52 00FFFFFF
	s_mul_i32 s82, s82, s71                                    // 0000000056B0: 92524752
	s_mul_i32 s61, s60, s61                                    // 0000000056B4: 923D3D3C
	s_add_u32 s82, s82, s61                                    // 0000000056B8: 80523D52
	v_mul_lo_u32 v6, v5, s82                                   // 0000000056BC: D2850006 0000A505
	v_readlane_b32 s82, v3, 5                                  // 0000000056C4: D2890052 00010B03
	s_lshr_b32 s61, s82, 24                                    // 0000000056CC: 8F3D9852
	s_and_b32 s82, s82, 0xffffff                               // 0000000056D0: 8652FF52 00FFFFFF
	s_mul_i32 s82, s82, s71                                    // 0000000056D8: 92524752
	s_mul_i32 s61, s60, s61                                    // 0000000056DC: 923D3D3C
	s_add_u32 s82, s82, s61                                    // 0000000056E0: 80523D52
	v_mul_lo_u32 v7, v4, s82                                   // 0000000056E4: D2850007 0000A504
	v_add_u32_e32 v52, v6, v7                                  // 0000000056EC: 68680F06
	v_readlane_b32 s82, v3, 6                                  // 0000000056F0: D2890052 00010D03
	s_lshr_b32 s61, s82, 24                                    // 0000000056F8: 8F3D9852
	s_and_b32 s82, s82, 0xffffff                               // 0000000056FC: 8652FF52 00FFFFFF
	s_mul_i32 s82, s82, s71                                    // 000000005704: 92524752
	s_mul_i32 s61, s60, s61                                    // 000000005708: 923D3D3C
	s_add_u32 s82, s82, s61                                    // 00000000570C: 80523D52
	v_mul_lo_u32 v6, v5, s82                                   // 000000005710: D2850006 0000A505
	v_readlane_b32 s82, v3, 7                                  // 000000005718: D2890052 00010F03
	s_lshr_b32 s61, s82, 24                                    // 000000005720: 8F3D9852
	s_and_b32 s82, s82, 0xffffff                               // 000000005724: 8652FF52 00FFFFFF
	s_mul_i32 s82, s82, s71                                    // 00000000572C: 92524752
	s_mul_i32 s61, s60, s61                                    // 000000005730: 923D3D3C
	s_add_u32 s82, s82, s61                                    // 000000005734: 80523D52
	v_mul_lo_u32 v7, v4, s82                                   // 000000005738: D2850007 0000A504
	v_add_u32_e32 v53, v6, v7                                  // 000000005740: 686A0F06
	v_readlane_b32 s82, v3, 8                                  // 000000005744: D2890052 00011103
	s_lshr_b32 s61, s82, 24                                    // 00000000574C: 8F3D9852
	s_and_b32 s82, s82, 0xffffff                               // 000000005750: 8652FF52 00FFFFFF
	s_mul_i32 s82, s82, s71                                    // 000000005758: 92524752
	s_mul_i32 s61, s60, s61                                    // 00000000575C: 923D3D3C
	s_add_u32 s82, s82, s61                                    // 000000005760: 80523D52
	v_mul_lo_u32 v6, v5, s82                                   // 000000005764: D2850006 0000A505
	v_readlane_b32 s82, v3, 9                                  // 00000000576C: D2890052 00011303
	s_lshr_b32 s61, s82, 24                                    // 000000005774: 8F3D9852
	s_and_b32 s82, s82, 0xffffff                               // 000000005778: 8652FF52 00FFFFFF
	s_mul_i32 s82, s82, s71                                    // 000000005780: 92524752
	s_mul_i32 s61, s60, s61                                    // 000000005784: 923D3D3C
	s_add_u32 s82, s82, s61                                    // 000000005788: 80523D52
	v_mul_lo_u32 v7, v4, s82                                   // 00000000578C: D2850007 0000A504
	v_add_u32_e32 v54, v6, v7                                  // 000000005794: 686C0F06
	v_readlane_b32 s82, v3, 10                                 // 000000005798: D2890052 00011503
	s_lshr_b32 s61, s82, 24                                    // 0000000057A0: 8F3D9852
	s_and_b32 s82, s82, 0xffffff                               // 0000000057A4: 8652FF52 00FFFFFF
	s_mul_i32 s82, s82, s71                                    // 0000000057AC: 92524752
	s_mul_i32 s61, s60, s61                                    // 0000000057B0: 923D3D3C
	s_add_u32 s82, s82, s61                                    // 0000000057B4: 80523D52
	v_mul_lo_u32 v6, v5, s82                                   // 0000000057B8: D2850006 0000A505
	v_readlane_b32 s82, v3, 11                                 // 0000000057C0: D2890052 00011703
	s_lshr_b32 s61, s82, 24                                    // 0000000057C8: 8F3D9852
	s_and_b32 s82, s82, 0xffffff                               // 0000000057CC: 8652FF52 00FFFFFF
	s_mul_i32 s82, s82, s71                                    // 0000000057D4: 92524752
	s_mul_i32 s61, s60, s61                                    // 0000000057D8: 923D3D3C
	s_add_u32 s82, s82, s61                                    // 0000000057DC: 80523D52
	v_mul_lo_u32 v7, v4, s82                                   // 0000000057E0: D2850007 0000A504
	v_add_u32_e32 v55, v6, v7                                  // 0000000057E8: 686E0F06
	v_readlane_b32 s82, v3, 12                                 // 0000000057EC: D2890052 00011903
	s_lshr_b32 s61, s82, 24                                    // 0000000057F4: 8F3D9852
	s_and_b32 s82, s82, 0xffffff                               // 0000000057F8: 8652FF52 00FFFFFF
	s_mul_i32 s82, s82, s71                                    // 000000005800: 92524752
	s_mul_i32 s61, s60, s61                                    // 000000005804: 923D3D3C
	s_add_u32 s82, s82, s61                                    // 000000005808: 80523D52
	v_mul_lo_u32 v6, v5, s82                                   // 00000000580C: D2850006 0000A505
	v_readlane_b32 s82, v3, 13                                 // 000000005814: D2890052 00011B03
	s_lshr_b32 s61, s82, 24                                    // 00000000581C: 8F3D9852
	s_and_b32 s82, s82, 0xffffff                               // 000000005820: 8652FF52 00FFFFFF
	s_mul_i32 s82, s82, s71                                    // 000000005828: 92524752
	s_mul_i32 s61, s60, s61                                    // 00000000582C: 923D3D3C
	s_add_u32 s82, s82, s61                                    // 000000005830: 80523D52
	v_mul_lo_u32 v7, v4, s82                                   // 000000005834: D2850007 0000A504
	v_add_u32_e32 v56, v6, v7                                  // 00000000583C: 68700F06
	v_readlane_b32 s82, v3, 14                                 // 000000005840: D2890052 00011D03
	s_lshr_b32 s61, s82, 24                                    // 000000005848: 8F3D9852
	s_and_b32 s82, s82, 0xffffff                               // 00000000584C: 8652FF52 00FFFFFF
	s_mul_i32 s82, s82, s71                                    // 000000005854: 92524752
	s_mul_i32 s61, s60, s61                                    // 000000005858: 923D3D3C
	s_add_u32 s82, s82, s61                                    // 00000000585C: 80523D52
	v_mul_lo_u32 v6, v5, s82                                   // 000000005860: D2850006 0000A505
	v_readlane_b32 s82, v3, 15                                 // 000000005868: D2890052 00011F03
	s_lshr_b32 s61, s82, 24                                    // 000000005870: 8F3D9852
	s_and_b32 s82, s82, 0xffffff                               // 000000005874: 8652FF52 00FFFFFF
	s_mul_i32 s82, s82, s71                                    // 00000000587C: 92524752
	s_mul_i32 s61, s60, s61                                    // 000000005880: 923D3D3C
	s_add_u32 s82, s82, s61                                    // 000000005884: 80523D52
	v_mul_lo_u32 v7, v4, s82                                   // 000000005888: D2850007 0000A504
	v_add_u32_e32 v57, v6, v7                                  // 000000005890: 68720F06
	v_readlane_b32 s82, v3, 16                                 // 000000005894: D2890052 00012103
	s_lshr_b32 s61, s82, 24                                    // 00000000589C: 8F3D9852
	s_and_b32 s82, s82, 0xffffff                               // 0000000058A0: 8652FF52 00FFFFFF
	s_mul_i32 s82, s82, s71                                    // 0000000058A8: 92524752
	s_mul_i32 s61, s60, s61                                    // 0000000058AC: 923D3D3C
	s_add_u32 s82, s82, s61                                    // 0000000058B0: 80523D52
	v_mul_lo_u32 v6, v5, s82                                   // 0000000058B4: D2850006 0000A505
	v_readlane_b32 s82, v3, 17                                 // 0000000058BC: D2890052 00012303
	s_lshr_b32 s61, s82, 24                                    // 0000000058C4: 8F3D9852
	s_and_b32 s82, s82, 0xffffff                               // 0000000058C8: 8652FF52 00FFFFFF
	s_mul_i32 s82, s82, s71                                    // 0000000058D0: 92524752
	s_mul_i32 s61, s60, s61                                    // 0000000058D4: 923D3D3C
	s_add_u32 s82, s82, s61                                    // 0000000058D8: 80523D52
	v_mul_lo_u32 v7, v4, s82                                   // 0000000058DC: D2850007 0000A504
	v_add_u32_e32 v58, v6, v7                                  // 0000000058E4: 68740F06
	v_readlane_b32 s82, v3, 18                                 // 0000000058E8: D2890052 00012503
	s_lshr_b32 s61, s82, 24                                    // 0000000058F0: 8F3D9852
	s_and_b32 s82, s82, 0xffffff                               // 0000000058F4: 8652FF52 00FFFFFF
	s_mul_i32 s82, s82, s71                                    // 0000000058FC: 92524752
	s_mul_i32 s61, s60, s61                                    // 000000005900: 923D3D3C
	s_add_u32 s82, s82, s61                                    // 000000005904: 80523D52
	v_mul_lo_u32 v6, v5, s82                                   // 000000005908: D2850006 0000A505
	v_readlane_b32 s82, v3, 19                                 // 000000005910: D2890052 00012703
	s_lshr_b32 s61, s82, 24                                    // 000000005918: 8F3D9852
	s_and_b32 s82, s82, 0xffffff                               // 00000000591C: 8652FF52 00FFFFFF
	s_mul_i32 s82, s82, s71                                    // 000000005924: 92524752
	s_mul_i32 s61, s60, s61                                    // 000000005928: 923D3D3C
	s_add_u32 s82, s82, s61                                    // 00000000592C: 80523D52
	v_mul_lo_u32 v7, v4, s82                                   // 000000005930: D2850007 0000A504
	v_add_u32_e32 v59, v6, v7                                  // 000000005938: 68760F06
	v_and_b32_e32 v4, 31, v0                                   // 00000000593C: 2608009F
	v_lshrrev_b32_e32 v4, 1, v4                                // 000000005940: 20080881
	s_cmp_eq_u32 s88, 0                                        // 000000005944: BF068058
	s_cselect_b32 s61, 2, 4                                    // 000000005948: 853D8482
	v_mul_lo_u32 v4, v4, s61                                   // 00000000594C: D2850004 00007B04
	v_and_b32_e64 v5, v0, 1                                    // 000000005954: D1130005 00010300
	v_add_u32_e32 v4, v4, v5                                   // 00000000595C: 68080B04
	v_lshlrev_b32_e32 v4, 2, v4                                // 000000005960: 24080882
	v_add_u32_e32 v50, v50, v4                                 // 000000005964: 68640932
	v_add_u32_e32 v51, v51, v4                                 // 000000005968: 68660933
	v_add_u32_e32 v52, v52, v4                                 // 00000000596C: 68680934
	v_add_u32_e32 v53, v53, v4                                 // 000000005970: 686A0935
	v_add_u32_e32 v54, v54, v4                                 // 000000005974: 686C0936
	v_add_u32_e32 v55, v55, v4                                 // 000000005978: 686E0937
	v_add_u32_e32 v56, v56, v4                                 // 00000000597C: 68700938
	v_add_u32_e32 v57, v57, v4                                 // 000000005980: 68720939
	v_add_u32_e32 v58, v58, v4                                 // 000000005984: 6874093A
	v_add_u32_e32 v59, v59, v4                                 // 000000005988: 6876093B
	s_waitcnt lgkmcnt(0)                                       // 00000000598C: BF8CC07F
	s_barrier                                                  // 000000005990: BF8A0000
	ds_read_b32 v64, v21                                       // 000000005994: D86C0000 40000015
	ds_read_b32 v65, v21 offset:64                             // 00000000599C: D86C0040 41000015
	ds_read_b32 v68, v21 offset:2176                           // 0000000059A4: D86C0880 44000015
	ds_read_b32 v69, v21 offset:2240                           // 0000000059AC: D86C08C0 45000015
	ds_read_b32 v72, v21 offset:4352                           // 0000000059B4: D86C1100 48000015
	ds_read_b32 v73, v21 offset:4416                           // 0000000059BC: D86C1140 49000015
	ds_read_b32 v76, v21 offset:6528                           // 0000000059C4: D86C1980 4C000015
	ds_read_b32 v77, v21 offset:6592                           // 0000000059CC: D86C19C0 4D000015
	ds_read_b32 v80, v21 offset:8704                           // 0000000059D4: D86C2200 50000015
	ds_read_b32 v81, v21 offset:8768                           // 0000000059DC: D86C2240 51000015
	s_waitcnt lgkmcnt(0)                                       // 0000000059E4: BF8CC07F
	s_mov_b32 s36, -1                                          // 0000000059E8: BEA400C1
	s_mov_b32 s37, -1                                          // 0000000059EC: BEA500C1
	v_mov_b32_e32 v7, 0                                        // 0000000059F0: 7E0E0280
	s_mov_b64 exec, s[36:37]                                   // 0000000059F4: BEFE0124
	v_mov_b32_e32 v6, v50                                      // 0000000059F8: 7E0C0332
	s_mov_b64 s[60:61], 0                                      // 0000000059FC: BEBC0180
	v_readlane_b32 s82, v3, 0                                  // 000000005A00: D2890052 00010103
	s_and_b32 s82, s82, 0xffffff                               // 000000005A08: 8652FF52 00FFFFFF
	s_cmp_lt_u32 s82, s66                                      // 000000005A10: BF0A4252
	s_cselect_b32 s20, s36, s60                                // 000000005A14: 85143C24
	v_readlane_b32 s82, v3, 1                                  // 000000005A18: D2890052 00010303
	s_and_b32 s82, s82, 0xffffff                               // 000000005A20: 8652FF52 00FFFFFF
	s_cmp_lt_u32 s82, s66                                      // 000000005A28: BF0A4252
	s_cselect_b32 s21, s36, s60                                // 000000005A2C: 85153C24
	s_mov_b64 exec, s[20:21]                                   // 000000005A30: BEFE0114
	global_atomic_add_f32 v6, v64, s[8:9]                      // 000000005A34: DD348000 00084006
	s_mov_b64 exec, s[36:37]                                   // 000000005A3C: BEFE0124
	v_mov_b32_e32 v6, v51                                      // 000000005A40: 7E0C0333
	s_mov_b64 s[60:61], 0                                      // 000000005A44: BEBC0180
	v_readlane_b32 s82, v3, 2                                  // 000000005A48: D2890052 00010503
	s_and_b32 s82, s82, 0xffffff                               // 000000005A50: 8652FF52 00FFFFFF
	s_cmp_lt_u32 s82, s66                                      // 000000005A58: BF0A4252
	s_cselect_b32 s20, s36, s60                                // 000000005A5C: 85143C24
	v_readlane_b32 s82, v3, 3                                  // 000000005A60: D2890052 00010703
	s_and_b32 s82, s82, 0xffffff                               // 000000005A68: 8652FF52 00FFFFFF
	s_cmp_lt_u32 s82, s66                                      // 000000005A70: BF0A4252
	s_cselect_b32 s21, s36, s60                                // 000000005A74: 85153C24
	s_mov_b64 exec, s[20:21]                                   // 000000005A78: BEFE0114
	global_atomic_add_f32 v6, v65, s[8:9]                      // 000000005A7C: DD348000 00084106
	s_mov_b64 exec, s[36:37]                                   // 000000005A84: BEFE0124
	v_mov_b32_e32 v6, v52                                      // 000000005A88: 7E0C0334
	s_mov_b64 s[60:61], 0                                      // 000000005A8C: BEBC0180
	v_readlane_b32 s82, v3, 4                                  // 000000005A90: D2890052 00010903
	s_and_b32 s82, s82, 0xffffff                               // 000000005A98: 8652FF52 00FFFFFF
	s_cmp_lt_u32 s82, s66                                      // 000000005AA0: BF0A4252
	s_cselect_b32 s20, s36, s60                                // 000000005AA4: 85143C24
	v_readlane_b32 s82, v3, 5                                  // 000000005AA8: D2890052 00010B03
	s_and_b32 s82, s82, 0xffffff                               // 000000005AB0: 8652FF52 00FFFFFF
	s_cmp_lt_u32 s82, s66                                      // 000000005AB8: BF0A4252
	s_cselect_b32 s21, s36, s60                                // 000000005ABC: 85153C24
	s_mov_b64 exec, s[20:21]                                   // 000000005AC0: BEFE0114
	global_atomic_add_f32 v6, v68, s[8:9]                      // 000000005AC4: DD348000 00084406
	s_mov_b64 exec, s[36:37]                                   // 000000005ACC: BEFE0124
	v_mov_b32_e32 v6, v53                                      // 000000005AD0: 7E0C0335
	s_mov_b64 s[60:61], 0                                      // 000000005AD4: BEBC0180
	v_readlane_b32 s82, v3, 6                                  // 000000005AD8: D2890052 00010D03
	s_and_b32 s82, s82, 0xffffff                               // 000000005AE0: 8652FF52 00FFFFFF
	s_cmp_lt_u32 s82, s66                                      // 000000005AE8: BF0A4252
	s_cselect_b32 s20, s36, s60                                // 000000005AEC: 85143C24
	v_readlane_b32 s82, v3, 7                                  // 000000005AF0: D2890052 00010F03
	s_and_b32 s82, s82, 0xffffff                               // 000000005AF8: 8652FF52 00FFFFFF
	s_cmp_lt_u32 s82, s66                                      // 000000005B00: BF0A4252
	s_cselect_b32 s21, s36, s60                                // 000000005B04: 85153C24
	s_mov_b64 exec, s[20:21]                                   // 000000005B08: BEFE0114
	global_atomic_add_f32 v6, v69, s[8:9]                      // 000000005B0C: DD348000 00084506
	s_mov_b64 exec, s[36:37]                                   // 000000005B14: BEFE0124
	v_mov_b32_e32 v6, v54                                      // 000000005B18: 7E0C0336
	s_mov_b64 s[60:61], 0                                      // 000000005B1C: BEBC0180
	v_readlane_b32 s82, v3, 8                                  // 000000005B20: D2890052 00011103
	s_and_b32 s82, s82, 0xffffff                               // 000000005B28: 8652FF52 00FFFFFF
	s_cmp_lt_u32 s82, s66                                      // 000000005B30: BF0A4252
	s_cselect_b32 s20, s36, s60                                // 000000005B34: 85143C24
	v_readlane_b32 s82, v3, 9                                  // 000000005B38: D2890052 00011303
	s_and_b32 s82, s82, 0xffffff                               // 000000005B40: 8652FF52 00FFFFFF
	s_cmp_lt_u32 s82, s66                                      // 000000005B48: BF0A4252
	s_cselect_b32 s21, s36, s60                                // 000000005B4C: 85153C24
	s_mov_b64 exec, s[20:21]                                   // 000000005B50: BEFE0114
	global_atomic_add_f32 v6, v72, s[8:9]                      // 000000005B54: DD348000 00084806
	s_mov_b64 exec, s[36:37]                                   // 000000005B5C: BEFE0124
	v_mov_b32_e32 v6, v55                                      // 000000005B60: 7E0C0337
	s_mov_b64 s[60:61], 0                                      // 000000005B64: BEBC0180
	v_readlane_b32 s82, v3, 10                                 // 000000005B68: D2890052 00011503
	s_and_b32 s82, s82, 0xffffff                               // 000000005B70: 8652FF52 00FFFFFF
	s_cmp_lt_u32 s82, s66                                      // 000000005B78: BF0A4252
	s_cselect_b32 s20, s36, s60                                // 000000005B7C: 85143C24
	v_readlane_b32 s82, v3, 11                                 // 000000005B80: D2890052 00011703
	s_and_b32 s82, s82, 0xffffff                               // 000000005B88: 8652FF52 00FFFFFF
	s_cmp_lt_u32 s82, s66                                      // 000000005B90: BF0A4252
	s_cselect_b32 s21, s36, s60                                // 000000005B94: 85153C24
	s_mov_b64 exec, s[20:21]                                   // 000000005B98: BEFE0114
	global_atomic_add_f32 v6, v73, s[8:9]                      // 000000005B9C: DD348000 00084906
	s_mov_b64 exec, s[36:37]                                   // 000000005BA4: BEFE0124
	v_mov_b32_e32 v6, v56                                      // 000000005BA8: 7E0C0338
	s_mov_b64 s[60:61], 0                                      // 000000005BAC: BEBC0180
	v_readlane_b32 s82, v3, 12                                 // 000000005BB0: D2890052 00011903
	s_and_b32 s82, s82, 0xffffff                               // 000000005BB8: 8652FF52 00FFFFFF
	s_cmp_lt_u32 s82, s66                                      // 000000005BC0: BF0A4252
	s_cselect_b32 s20, s36, s60                                // 000000005BC4: 85143C24
	v_readlane_b32 s82, v3, 13                                 // 000000005BC8: D2890052 00011B03
	s_and_b32 s82, s82, 0xffffff                               // 000000005BD0: 8652FF52 00FFFFFF
	s_cmp_lt_u32 s82, s66                                      // 000000005BD8: BF0A4252
	s_cselect_b32 s21, s36, s60                                // 000000005BDC: 85153C24
	s_mov_b64 exec, s[20:21]                                   // 000000005BE0: BEFE0114
	global_atomic_add_f32 v6, v76, s[8:9]                      // 000000005BE4: DD348000 00084C06
	s_mov_b64 exec, s[36:37]                                   // 000000005BEC: BEFE0124
	v_mov_b32_e32 v6, v57                                      // 000000005BF0: 7E0C0339
	s_mov_b64 s[60:61], 0                                      // 000000005BF4: BEBC0180
	v_readlane_b32 s82, v3, 14                                 // 000000005BF8: D2890052 00011D03
	s_and_b32 s82, s82, 0xffffff                               // 000000005C00: 8652FF52 00FFFFFF
	s_cmp_lt_u32 s82, s66                                      // 000000005C08: BF0A4252
	s_cselect_b32 s20, s36, s60                                // 000000005C0C: 85143C24
	v_readlane_b32 s82, v3, 15                                 // 000000005C10: D2890052 00011F03
	s_and_b32 s82, s82, 0xffffff                               // 000000005C18: 8652FF52 00FFFFFF
	s_cmp_lt_u32 s82, s66                                      // 000000005C20: BF0A4252
	s_cselect_b32 s21, s36, s60                                // 000000005C24: 85153C24
	s_mov_b64 exec, s[20:21]                                   // 000000005C28: BEFE0114
	global_atomic_add_f32 v6, v77, s[8:9]                      // 000000005C2C: DD348000 00084D06
	s_mov_b64 exec, s[36:37]                                   // 000000005C34: BEFE0124
	v_mov_b32_e32 v6, v58                                      // 000000005C38: 7E0C033A
	s_mov_b64 s[60:61], 0                                      // 000000005C3C: BEBC0180
	v_readlane_b32 s82, v3, 16                                 // 000000005C40: D2890052 00012103
	s_and_b32 s82, s82, 0xffffff                               // 000000005C48: 8652FF52 00FFFFFF
	s_cmp_lt_u32 s82, s66                                      // 000000005C50: BF0A4252
	s_cselect_b32 s20, s36, s60                                // 000000005C54: 85143C24
	v_readlane_b32 s82, v3, 17                                 // 000000005C58: D2890052 00012303
	s_and_b32 s82, s82, 0xffffff                               // 000000005C60: 8652FF52 00FFFFFF
	s_cmp_lt_u32 s82, s66                                      // 000000005C68: BF0A4252
	s_cselect_b32 s21, s36, s60                                // 000000005C6C: 85153C24
	s_mov_b64 exec, s[20:21]                                   // 000000005C70: BEFE0114
	global_atomic_add_f32 v6, v80, s[8:9]                      // 000000005C74: DD348000 00085006
	s_mov_b64 exec, s[36:37]                                   // 000000005C7C: BEFE0124
	v_mov_b32_e32 v6, v59                                      // 000000005C80: 7E0C033B
	s_mov_b64 s[60:61], 0                                      // 000000005C84: BEBC0180
	v_readlane_b32 s82, v3, 18                                 // 000000005C88: D2890052 00012503
	s_and_b32 s82, s82, 0xffffff                               // 000000005C90: 8652FF52 00FFFFFF
	s_cmp_lt_u32 s82, s66                                      // 000000005C98: BF0A4252
	s_cselect_b32 s20, s36, s60                                // 000000005C9C: 85143C24
	v_readlane_b32 s82, v3, 19                                 // 000000005CA0: D2890052 00012703
	s_and_b32 s82, s82, 0xffffff                               // 000000005CA8: 8652FF52 00FFFFFF
	s_cmp_lt_u32 s82, s66                                      // 000000005CB0: BF0A4252
	s_cselect_b32 s21, s36, s60                                // 000000005CB4: 85153C24
	s_mov_b64 exec, s[20:21]                                   // 000000005CB8: BEFE0114
	global_atomic_add_f32 v6, v81, s[8:9]                      // 000000005CBC: DD348000 00085106
	s_mov_b64 exec, s[36:37]                                   // 000000005CC4: BEFE0124
	ds_write_b64 v20, v[66:67]                                 // 000000005CC8: D89A0000 00004214
	ds_write_b64 v20, v[70:71] offset:2176                     // 000000005CD0: D89A0880 00004614
	ds_write_b64 v20, v[74:75] offset:4352                     // 000000005CD8: D89A1100 00004A14
	ds_write_b64 v20, v[78:79] offset:6528                     // 000000005CE0: D89A1980 00004E14
	ds_write_b64 v20, v[82:83] offset:8704                     // 000000005CE8: D89A2200 00005214
	s_waitcnt lgkmcnt(0)                                       // 000000005CF0: BF8CC07F
	s_barrier                                                  // 000000005CF4: BF8A0000
	ds_read_b32 v66, v21                                       // 000000005CF8: D86C0000 42000015
	ds_read_b32 v67, v21 offset:64                             // 000000005D00: D86C0040 43000015
	ds_read_b32 v70, v21 offset:2176                           // 000000005D08: D86C0880 46000015
	ds_read_b32 v71, v21 offset:2240                           // 000000005D10: D86C08C0 47000015
	ds_read_b32 v74, v21 offset:4352                           // 000000005D18: D86C1100 4A000015
	ds_read_b32 v75, v21 offset:4416                           // 000000005D20: D86C1140 4B000015
	ds_read_b32 v78, v21 offset:6528                           // 000000005D28: D86C1980 4E000015
	ds_read_b32 v79, v21 offset:6592                           // 000000005D30: D86C19C0 4F000015
	ds_read_b32 v82, v21 offset:8704                           // 000000005D38: D86C2200 52000015
	ds_read_b32 v83, v21 offset:8768                           // 000000005D40: D86C2240 53000015
	s_waitcnt lgkmcnt(0)                                       // 000000005D48: BF8CC07F
	v_mov_b32_e32 v7, 0                                        // 000000005D4C: 7E0E0280
	s_mov_b64 exec, s[36:37]                                   // 000000005D50: BEFE0124
	v_mov_b32_e32 v6, v50                                      // 000000005D54: 7E0C0332
	s_mov_b64 s[60:61], 0                                      // 000000005D58: BEBC0180
	v_readlane_b32 s82, v3, 0                                  // 000000005D5C: D2890052 00010103
	s_and_b32 s82, s82, 0xffffff                               // 000000005D64: 8652FF52 00FFFFFF
	s_cmp_lt_u32 s82, s66                                      // 000000005D6C: BF0A4252
	s_cselect_b32 s20, s36, s60                                // 000000005D70: 85143C24
	v_readlane_b32 s82, v3, 1                                  // 000000005D74: D2890052 00010303
	s_and_b32 s82, s82, 0xffffff                               // 000000005D7C: 8652FF52 00FFFFFF
	s_cmp_lt_u32 s82, s66                                      // 000000005D84: BF0A4252
	s_cselect_b32 s21, s36, s60                                // 000000005D88: 85153C24
	s_mov_b64 exec, s[20:21]                                   // 000000005D8C: BEFE0114
	global_atomic_add_f32 v6, v66, s[8:9] offset:8             // 000000005D90: DD348008 00084206
	s_mov_b64 exec, s[36:37]                                   // 000000005D98: BEFE0124
	v_mov_b32_e32 v6, v51                                      // 000000005D9C: 7E0C0333
	s_mov_b64 s[60:61], 0                                      // 000000005DA0: BEBC0180
	v_readlane_b32 s82, v3, 2                                  // 000000005DA4: D2890052 00010503
	s_and_b32 s82, s82, 0xffffff                               // 000000005DAC: 8652FF52 00FFFFFF
	s_cmp_lt_u32 s82, s66                                      // 000000005DB4: BF0A4252
	s_cselect_b32 s20, s36, s60                                // 000000005DB8: 85143C24
	v_readlane_b32 s82, v3, 3                                  // 000000005DBC: D2890052 00010703
	s_and_b32 s82, s82, 0xffffff                               // 000000005DC4: 8652FF52 00FFFFFF
	s_cmp_lt_u32 s82, s66                                      // 000000005DCC: BF0A4252
	s_cselect_b32 s21, s36, s60                                // 000000005DD0: 85153C24
	s_mov_b64 exec, s[20:21]                                   // 000000005DD4: BEFE0114
	global_atomic_add_f32 v6, v67, s[8:9] offset:8             // 000000005DD8: DD348008 00084306
	s_mov_b64 exec, s[36:37]                                   // 000000005DE0: BEFE0124
	v_mov_b32_e32 v6, v52                                      // 000000005DE4: 7E0C0334
	s_mov_b64 s[60:61], 0                                      // 000000005DE8: BEBC0180
	v_readlane_b32 s82, v3, 4                                  // 000000005DEC: D2890052 00010903
	s_and_b32 s82, s82, 0xffffff                               // 000000005DF4: 8652FF52 00FFFFFF
	s_cmp_lt_u32 s82, s66                                      // 000000005DFC: BF0A4252
	s_cselect_b32 s20, s36, s60                                // 000000005E00: 85143C24
	v_readlane_b32 s82, v3, 5                                  // 000000005E04: D2890052 00010B03
	s_and_b32 s82, s82, 0xffffff                               // 000000005E0C: 8652FF52 00FFFFFF
	s_cmp_lt_u32 s82, s66                                      // 000000005E14: BF0A4252
	s_cselect_b32 s21, s36, s60                                // 000000005E18: 85153C24
	s_mov_b64 exec, s[20:21]                                   // 000000005E1C: BEFE0114
	global_atomic_add_f32 v6, v70, s[8:9] offset:8             // 000000005E20: DD348008 00084606
	s_mov_b64 exec, s[36:37]                                   // 000000005E28: BEFE0124
	v_mov_b32_e32 v6, v53                                      // 000000005E2C: 7E0C0335
	s_mov_b64 s[60:61], 0                                      // 000000005E30: BEBC0180
	v_readlane_b32 s82, v3, 6                                  // 000000005E34: D2890052 00010D03
	s_and_b32 s82, s82, 0xffffff                               // 000000005E3C: 8652FF52 00FFFFFF
	s_cmp_lt_u32 s82, s66                                      // 000000005E44: BF0A4252
	s_cselect_b32 s20, s36, s60                                // 000000005E48: 85143C24
	v_readlane_b32 s82, v3, 7                                  // 000000005E4C: D2890052 00010F03
	s_and_b32 s82, s82, 0xffffff                               // 000000005E54: 8652FF52 00FFFFFF
	s_cmp_lt_u32 s82, s66                                      // 000000005E5C: BF0A4252
	s_cselect_b32 s21, s36, s60                                // 000000005E60: 85153C24
	s_mov_b64 exec, s[20:21]                                   // 000000005E64: BEFE0114
	global_atomic_add_f32 v6, v71, s[8:9] offset:8             // 000000005E68: DD348008 00084706
	s_mov_b64 exec, s[36:37]                                   // 000000005E70: BEFE0124
	v_mov_b32_e32 v6, v54                                      // 000000005E74: 7E0C0336
	s_mov_b64 s[60:61], 0                                      // 000000005E78: BEBC0180
	v_readlane_b32 s82, v3, 8                                  // 000000005E7C: D2890052 00011103
	s_and_b32 s82, s82, 0xffffff                               // 000000005E84: 8652FF52 00FFFFFF
	s_cmp_lt_u32 s82, s66                                      // 000000005E8C: BF0A4252
	s_cselect_b32 s20, s36, s60                                // 000000005E90: 85143C24
	v_readlane_b32 s82, v3, 9                                  // 000000005E94: D2890052 00011303
	s_and_b32 s82, s82, 0xffffff                               // 000000005E9C: 8652FF52 00FFFFFF
	s_cmp_lt_u32 s82, s66                                      // 000000005EA4: BF0A4252
	s_cselect_b32 s21, s36, s60                                // 000000005EA8: 85153C24
	s_mov_b64 exec, s[20:21]                                   // 000000005EAC: BEFE0114
	global_atomic_add_f32 v6, v74, s[8:9] offset:8             // 000000005EB0: DD348008 00084A06
	s_mov_b64 exec, s[36:37]                                   // 000000005EB8: BEFE0124
	v_mov_b32_e32 v6, v55                                      // 000000005EBC: 7E0C0337
	s_mov_b64 s[60:61], 0                                      // 000000005EC0: BEBC0180
	v_readlane_b32 s82, v3, 10                                 // 000000005EC4: D2890052 00011503
	s_and_b32 s82, s82, 0xffffff                               // 000000005ECC: 8652FF52 00FFFFFF
	s_cmp_lt_u32 s82, s66                                      // 000000005ED4: BF0A4252
	s_cselect_b32 s20, s36, s60                                // 000000005ED8: 85143C24
	v_readlane_b32 s82, v3, 11                                 // 000000005EDC: D2890052 00011703
	s_and_b32 s82, s82, 0xffffff                               // 000000005EE4: 8652FF52 00FFFFFF
	s_cmp_lt_u32 s82, s66                                      // 000000005EEC: BF0A4252
	s_cselect_b32 s21, s36, s60                                // 000000005EF0: 85153C24
	s_mov_b64 exec, s[20:21]                                   // 000000005EF4: BEFE0114
	global_atomic_add_f32 v6, v75, s[8:9] offset:8             // 000000005EF8: DD348008 00084B06
	s_mov_b64 exec, s[36:37]                                   // 000000005F00: BEFE0124
	v_mov_b32_e32 v6, v56                                      // 000000005F04: 7E0C0338
	s_mov_b64 s[60:61], 0                                      // 000000005F08: BEBC0180
	v_readlane_b32 s82, v3, 12                                 // 000000005F0C: D2890052 00011903
	s_and_b32 s82, s82, 0xffffff                               // 000000005F14: 8652FF52 00FFFFFF
	s_cmp_lt_u32 s82, s66                                      // 000000005F1C: BF0A4252
	s_cselect_b32 s20, s36, s60                                // 000000005F20: 85143C24
	v_readlane_b32 s82, v3, 13                                 // 000000005F24: D2890052 00011B03
	s_and_b32 s82, s82, 0xffffff                               // 000000005F2C: 8652FF52 00FFFFFF
	s_cmp_lt_u32 s82, s66                                      // 000000005F34: BF0A4252
	s_cselect_b32 s21, s36, s60                                // 000000005F38: 85153C24
	s_mov_b64 exec, s[20:21]                                   // 000000005F3C: BEFE0114
	global_atomic_add_f32 v6, v78, s[8:9] offset:8             // 000000005F40: DD348008 00084E06
	s_mov_b64 exec, s[36:37]                                   // 000000005F48: BEFE0124
	v_mov_b32_e32 v6, v57                                      // 000000005F4C: 7E0C0339
	s_mov_b64 s[60:61], 0                                      // 000000005F50: BEBC0180
	v_readlane_b32 s82, v3, 14                                 // 000000005F54: D2890052 00011D03
	s_and_b32 s82, s82, 0xffffff                               // 000000005F5C: 8652FF52 00FFFFFF
	s_cmp_lt_u32 s82, s66                                      // 000000005F64: BF0A4252
	s_cselect_b32 s20, s36, s60                                // 000000005F68: 85143C24
	v_readlane_b32 s82, v3, 15                                 // 000000005F6C: D2890052 00011F03
	s_and_b32 s82, s82, 0xffffff                               // 000000005F74: 8652FF52 00FFFFFF
	s_cmp_lt_u32 s82, s66                                      // 000000005F7C: BF0A4252
	s_cselect_b32 s21, s36, s60                                // 000000005F80: 85153C24
	s_mov_b64 exec, s[20:21]                                   // 000000005F84: BEFE0114
	global_atomic_add_f32 v6, v79, s[8:9] offset:8             // 000000005F88: DD348008 00084F06
	s_mov_b64 exec, s[36:37]                                   // 000000005F90: BEFE0124
	v_mov_b32_e32 v6, v58                                      // 000000005F94: 7E0C033A
	s_mov_b64 s[60:61], 0                                      // 000000005F98: BEBC0180
	v_readlane_b32 s82, v3, 16                                 // 000000005F9C: D2890052 00012103
	s_and_b32 s82, s82, 0xffffff                               // 000000005FA4: 8652FF52 00FFFFFF
	s_cmp_lt_u32 s82, s66                                      // 000000005FAC: BF0A4252
	s_cselect_b32 s20, s36, s60                                // 000000005FB0: 85143C24
	v_readlane_b32 s82, v3, 17                                 // 000000005FB4: D2890052 00012303
	s_and_b32 s82, s82, 0xffffff                               // 000000005FBC: 8652FF52 00FFFFFF
	s_cmp_lt_u32 s82, s66                                      // 000000005FC4: BF0A4252
	s_cselect_b32 s21, s36, s60                                // 000000005FC8: 85153C24
	s_mov_b64 exec, s[20:21]                                   // 000000005FCC: BEFE0114
	global_atomic_add_f32 v6, v82, s[8:9] offset:8             // 000000005FD0: DD348008 00085206
	s_mov_b64 exec, s[36:37]                                   // 000000005FD8: BEFE0124
	v_mov_b32_e32 v6, v59                                      // 000000005FDC: 7E0C033B
	s_mov_b64 s[60:61], 0                                      // 000000005FE0: BEBC0180
	v_readlane_b32 s82, v3, 18                                 // 000000005FE4: D2890052 00012503
	s_and_b32 s82, s82, 0xffffff                               // 000000005FEC: 8652FF52 00FFFFFF
	s_cmp_lt_u32 s82, s66                                      // 000000005FF4: BF0A4252
	s_cselect_b32 s20, s36, s60                                // 000000005FF8: 85143C24
	v_readlane_b32 s82, v3, 19                                 // 000000005FFC: D2890052 00012703
	s_and_b32 s82, s82, 0xffffff                               // 000000006004: 8652FF52 00FFFFFF
	s_cmp_lt_u32 s82, s66                                      // 00000000600C: BF0A4252
	s_cselect_b32 s21, s36, s60                                // 000000006010: 85153C24
	s_mov_b64 exec, s[20:21]                                   // 000000006014: BEFE0114
	global_atomic_add_f32 v6, v83, s[8:9] offset:8             // 000000006018: DD348008 00085306
	s_mov_b64 exec, s[36:37]                                   // 000000006020: BEFE0124
	ds_write_b64 v20, v[84:85]                                 // 000000006024: D89A0000 00005414
	ds_write_b64 v20, v[88:89] offset:2176                     // 00000000602C: D89A0880 00005814
	ds_write_b64 v20, v[92:93] offset:4352                     // 000000006034: D89A1100 00005C14
	ds_write_b64 v20, v[96:97] offset:6528                     // 00000000603C: D89A1980 00006014
	ds_write_b64 v20, v[100:101] offset:8704                   // 000000006044: D89A2200 00006414
	s_waitcnt lgkmcnt(0)                                       // 00000000604C: BF8CC07F
	s_barrier                                                  // 000000006050: BF8A0000
	ds_read_b32 v84, v21                                       // 000000006054: D86C0000 54000015
	ds_read_b32 v85, v21 offset:64                             // 00000000605C: D86C0040 55000015
	ds_read_b32 v88, v21 offset:2176                           // 000000006064: D86C0880 58000015
	ds_read_b32 v89, v21 offset:2240                           // 00000000606C: D86C08C0 59000015
	ds_read_b32 v92, v21 offset:4352                           // 000000006074: D86C1100 5C000015
	ds_read_b32 v93, v21 offset:4416                           // 00000000607C: D86C1140 5D000015
	ds_read_b32 v96, v21 offset:6528                           // 000000006084: D86C1980 60000015
	ds_read_b32 v97, v21 offset:6592                           // 00000000608C: D86C19C0 61000015
	ds_read_b32 v100, v21 offset:8704                          // 000000006094: D86C2200 64000015
	ds_read_b32 v101, v21 offset:8768                          // 00000000609C: D86C2240 65000015
	s_mul_i32 s60, s65, 4                                      // 0000000060A4: 923C8441
	s_add_u32 s8, s60, s8                                      // 0000000060A8: 8008083C
	s_addc_u32 s9, 0, s9                                       // 0000000060AC: 82090980
	s_waitcnt lgkmcnt(0)                                       // 0000000060B0: BF8CC07F
	v_mov_b32_e32 v7, 0                                        // 0000000060B4: 7E0E0280
	s_mov_b64 exec, s[36:37]                                   // 0000000060B8: BEFE0124
	v_mov_b32_e32 v6, v50                                      // 0000000060BC: 7E0C0332
	s_mov_b64 s[60:61], 0                                      // 0000000060C0: BEBC0180
	v_readlane_b32 s82, v3, 0                                  // 0000000060C4: D2890052 00010103
	s_and_b32 s82, s82, 0xffffff                               // 0000000060CC: 8652FF52 00FFFFFF
	s_cmp_lt_u32 s82, s66                                      // 0000000060D4: BF0A4252
	s_cselect_b32 s20, s36, s60                                // 0000000060D8: 85143C24
	v_readlane_b32 s82, v3, 1                                  // 0000000060DC: D2890052 00010303
	s_and_b32 s82, s82, 0xffffff                               // 0000000060E4: 8652FF52 00FFFFFF
	s_cmp_lt_u32 s82, s66                                      // 0000000060EC: BF0A4252
	s_cselect_b32 s21, s36, s60                                // 0000000060F0: 85153C24
	s_mov_b64 exec, s[20:21]                                   // 0000000060F4: BEFE0114
	global_atomic_add_f32 v6, v84, s[8:9]                      // 0000000060F8: DD348000 00085406
	s_mov_b64 exec, s[36:37]                                   // 000000006100: BEFE0124
	v_mov_b32_e32 v6, v51                                      // 000000006104: 7E0C0333
	s_mov_b64 s[60:61], 0                                      // 000000006108: BEBC0180
	v_readlane_b32 s82, v3, 2                                  // 00000000610C: D2890052 00010503
	s_and_b32 s82, s82, 0xffffff                               // 000000006114: 8652FF52 00FFFFFF
	s_cmp_lt_u32 s82, s66                                      // 00000000611C: BF0A4252
	s_cselect_b32 s20, s36, s60                                // 000000006120: 85143C24
	v_readlane_b32 s82, v3, 3                                  // 000000006124: D2890052 00010703
	s_and_b32 s82, s82, 0xffffff                               // 00000000612C: 8652FF52 00FFFFFF
	s_cmp_lt_u32 s82, s66                                      // 000000006134: BF0A4252
	s_cselect_b32 s21, s36, s60                                // 000000006138: 85153C24
	s_mov_b64 exec, s[20:21]                                   // 00000000613C: BEFE0114
	global_atomic_add_f32 v6, v85, s[8:9]                      // 000000006140: DD348000 00085506
	s_mov_b64 exec, s[36:37]                                   // 000000006148: BEFE0124
	v_mov_b32_e32 v6, v52                                      // 00000000614C: 7E0C0334
	s_mov_b64 s[60:61], 0                                      // 000000006150: BEBC0180
	v_readlane_b32 s82, v3, 4                                  // 000000006154: D2890052 00010903
	s_and_b32 s82, s82, 0xffffff                               // 00000000615C: 8652FF52 00FFFFFF
	s_cmp_lt_u32 s82, s66                                      // 000000006164: BF0A4252
	s_cselect_b32 s20, s36, s60                                // 000000006168: 85143C24
	v_readlane_b32 s82, v3, 5                                  // 00000000616C: D2890052 00010B03
	s_and_b32 s82, s82, 0xffffff                               // 000000006174: 8652FF52 00FFFFFF
	s_cmp_lt_u32 s82, s66                                      // 00000000617C: BF0A4252
	s_cselect_b32 s21, s36, s60                                // 000000006180: 85153C24
	s_mov_b64 exec, s[20:21]                                   // 000000006184: BEFE0114
	global_atomic_add_f32 v6, v88, s[8:9]                      // 000000006188: DD348000 00085806
	s_mov_b64 exec, s[36:37]                                   // 000000006190: BEFE0124
	v_mov_b32_e32 v6, v53                                      // 000000006194: 7E0C0335
	s_mov_b64 s[60:61], 0                                      // 000000006198: BEBC0180
	v_readlane_b32 s82, v3, 6                                  // 00000000619C: D2890052 00010D03
	s_and_b32 s82, s82, 0xffffff                               // 0000000061A4: 8652FF52 00FFFFFF
	s_cmp_lt_u32 s82, s66                                      // 0000000061AC: BF0A4252
	s_cselect_b32 s20, s36, s60                                // 0000000061B0: 85143C24
	v_readlane_b32 s82, v3, 7                                  // 0000000061B4: D2890052 00010F03
	s_and_b32 s82, s82, 0xffffff                               // 0000000061BC: 8652FF52 00FFFFFF
	s_cmp_lt_u32 s82, s66                                      // 0000000061C4: BF0A4252
	s_cselect_b32 s21, s36, s60                                // 0000000061C8: 85153C24
	s_mov_b64 exec, s[20:21]                                   // 0000000061CC: BEFE0114
	global_atomic_add_f32 v6, v89, s[8:9]                      // 0000000061D0: DD348000 00085906
	s_mov_b64 exec, s[36:37]                                   // 0000000061D8: BEFE0124
	v_mov_b32_e32 v6, v54                                      // 0000000061DC: 7E0C0336
	s_mov_b64 s[60:61], 0                                      // 0000000061E0: BEBC0180
	v_readlane_b32 s82, v3, 8                                  // 0000000061E4: D2890052 00011103
	s_and_b32 s82, s82, 0xffffff                               // 0000000061EC: 8652FF52 00FFFFFF
	s_cmp_lt_u32 s82, s66                                      // 0000000061F4: BF0A4252
	s_cselect_b32 s20, s36, s60                                // 0000000061F8: 85143C24
	v_readlane_b32 s82, v3, 9                                  // 0000000061FC: D2890052 00011303
	s_and_b32 s82, s82, 0xffffff                               // 000000006204: 8652FF52 00FFFFFF
	s_cmp_lt_u32 s82, s66                                      // 00000000620C: BF0A4252
	s_cselect_b32 s21, s36, s60                                // 000000006210: 85153C24
	s_mov_b64 exec, s[20:21]                                   // 000000006214: BEFE0114
	global_atomic_add_f32 v6, v92, s[8:9]                      // 000000006218: DD348000 00085C06
	s_mov_b64 exec, s[36:37]                                   // 000000006220: BEFE0124
	v_mov_b32_e32 v6, v55                                      // 000000006224: 7E0C0337
	s_mov_b64 s[60:61], 0                                      // 000000006228: BEBC0180
	v_readlane_b32 s82, v3, 10                                 // 00000000622C: D2890052 00011503
	s_and_b32 s82, s82, 0xffffff                               // 000000006234: 8652FF52 00FFFFFF
	s_cmp_lt_u32 s82, s66                                      // 00000000623C: BF0A4252
	s_cselect_b32 s20, s36, s60                                // 000000006240: 85143C24
	v_readlane_b32 s82, v3, 11                                 // 000000006244: D2890052 00011703
	s_and_b32 s82, s82, 0xffffff                               // 00000000624C: 8652FF52 00FFFFFF
	s_cmp_lt_u32 s82, s66                                      // 000000006254: BF0A4252
	s_cselect_b32 s21, s36, s60                                // 000000006258: 85153C24
	s_mov_b64 exec, s[20:21]                                   // 00000000625C: BEFE0114
	global_atomic_add_f32 v6, v93, s[8:9]                      // 000000006260: DD348000 00085D06
	s_mov_b64 exec, s[36:37]                                   // 000000006268: BEFE0124
	v_mov_b32_e32 v6, v56                                      // 00000000626C: 7E0C0338
	s_mov_b64 s[60:61], 0                                      // 000000006270: BEBC0180
	v_readlane_b32 s82, v3, 12                                 // 000000006274: D2890052 00011903
	s_and_b32 s82, s82, 0xffffff                               // 00000000627C: 8652FF52 00FFFFFF
	s_cmp_lt_u32 s82, s66                                      // 000000006284: BF0A4252
	s_cselect_b32 s20, s36, s60                                // 000000006288: 85143C24
	v_readlane_b32 s82, v3, 13                                 // 00000000628C: D2890052 00011B03
	s_and_b32 s82, s82, 0xffffff                               // 000000006294: 8652FF52 00FFFFFF
	s_cmp_lt_u32 s82, s66                                      // 00000000629C: BF0A4252
	s_cselect_b32 s21, s36, s60                                // 0000000062A0: 85153C24
	s_mov_b64 exec, s[20:21]                                   // 0000000062A4: BEFE0114
	global_atomic_add_f32 v6, v96, s[8:9]                      // 0000000062A8: DD348000 00086006
	s_mov_b64 exec, s[36:37]                                   // 0000000062B0: BEFE0124
	v_mov_b32_e32 v6, v57                                      // 0000000062B4: 7E0C0339
	s_mov_b64 s[60:61], 0                                      // 0000000062B8: BEBC0180
	v_readlane_b32 s82, v3, 14                                 // 0000000062BC: D2890052 00011D03
	s_and_b32 s82, s82, 0xffffff                               // 0000000062C4: 8652FF52 00FFFFFF
	s_cmp_lt_u32 s82, s66                                      // 0000000062CC: BF0A4252
	s_cselect_b32 s20, s36, s60                                // 0000000062D0: 85143C24
	v_readlane_b32 s82, v3, 15                                 // 0000000062D4: D2890052 00011F03
	s_and_b32 s82, s82, 0xffffff                               // 0000000062DC: 8652FF52 00FFFFFF
	s_cmp_lt_u32 s82, s66                                      // 0000000062E4: BF0A4252
	s_cselect_b32 s21, s36, s60                                // 0000000062E8: 85153C24
	s_mov_b64 exec, s[20:21]                                   // 0000000062EC: BEFE0114
	global_atomic_add_f32 v6, v97, s[8:9]                      // 0000000062F0: DD348000 00086106
	s_mov_b64 exec, s[36:37]                                   // 0000000062F8: BEFE0124
	v_mov_b32_e32 v6, v58                                      // 0000000062FC: 7E0C033A
	s_mov_b64 s[60:61], 0                                      // 000000006300: BEBC0180
	v_readlane_b32 s82, v3, 16                                 // 000000006304: D2890052 00012103
	s_and_b32 s82, s82, 0xffffff                               // 00000000630C: 8652FF52 00FFFFFF
	s_cmp_lt_u32 s82, s66                                      // 000000006314: BF0A4252
	s_cselect_b32 s20, s36, s60                                // 000000006318: 85143C24
	v_readlane_b32 s82, v3, 17                                 // 00000000631C: D2890052 00012303
	s_and_b32 s82, s82, 0xffffff                               // 000000006324: 8652FF52 00FFFFFF
	s_cmp_lt_u32 s82, s66                                      // 00000000632C: BF0A4252
	s_cselect_b32 s21, s36, s60                                // 000000006330: 85153C24
	s_mov_b64 exec, s[20:21]                                   // 000000006334: BEFE0114
	global_atomic_add_f32 v6, v100, s[8:9]                     // 000000006338: DD348000 00086406
	s_mov_b64 exec, s[36:37]                                   // 000000006340: BEFE0124
	v_mov_b32_e32 v6, v59                                      // 000000006344: 7E0C033B
	s_mov_b64 s[60:61], 0                                      // 000000006348: BEBC0180
	v_readlane_b32 s82, v3, 18                                 // 00000000634C: D2890052 00012503
	s_and_b32 s82, s82, 0xffffff                               // 000000006354: 8652FF52 00FFFFFF
	s_cmp_lt_u32 s82, s66                                      // 00000000635C: BF0A4252
	s_cselect_b32 s20, s36, s60                                // 000000006360: 85143C24
	v_readlane_b32 s82, v3, 19                                 // 000000006364: D2890052 00012703
	s_and_b32 s82, s82, 0xffffff                               // 00000000636C: 8652FF52 00FFFFFF
	s_cmp_lt_u32 s82, s66                                      // 000000006374: BF0A4252
	s_cselect_b32 s21, s36, s60                                // 000000006378: 85153C24
	s_mov_b64 exec, s[20:21]                                   // 00000000637C: BEFE0114
	global_atomic_add_f32 v6, v101, s[8:9]                     // 000000006380: DD348000 00086506
	s_mov_b64 exec, s[36:37]                                   // 000000006388: BEFE0124
	ds_write_b64 v20, v[86:87]                                 // 00000000638C: D89A0000 00005614
	ds_write_b64 v20, v[90:91] offset:2176                     // 000000006394: D89A0880 00005A14
	ds_write_b64 v20, v[94:95] offset:4352                     // 00000000639C: D89A1100 00005E14
	ds_write_b64 v20, v[98:99] offset:6528                     // 0000000063A4: D89A1980 00006214
	ds_write_b64 v20, v[102:103] offset:8704                   // 0000000063AC: D89A2200 00006614
	s_waitcnt lgkmcnt(0)                                       // 0000000063B4: BF8CC07F
	s_barrier                                                  // 0000000063B8: BF8A0000
	ds_read_b32 v86, v21                                       // 0000000063BC: D86C0000 56000015
	ds_read_b32 v87, v21 offset:64                             // 0000000063C4: D86C0040 57000015
	ds_read_b32 v90, v21 offset:2176                           // 0000000063CC: D86C0880 5A000015
	ds_read_b32 v91, v21 offset:2240                           // 0000000063D4: D86C08C0 5B000015
	ds_read_b32 v94, v21 offset:4352                           // 0000000063DC: D86C1100 5E000015
	ds_read_b32 v95, v21 offset:4416                           // 0000000063E4: D86C1140 5F000015
	ds_read_b32 v98, v21 offset:6528                           // 0000000063EC: D86C1980 62000015
	ds_read_b32 v99, v21 offset:6592                           // 0000000063F4: D86C19C0 63000015
	ds_read_b32 v102, v21 offset:8704                          // 0000000063FC: D86C2200 66000015
	ds_read_b32 v103, v21 offset:8768                          // 000000006404: D86C2240 67000015
	s_waitcnt lgkmcnt(0)                                       // 00000000640C: BF8CC07F
	v_mov_b32_e32 v7, 0                                        // 000000006410: 7E0E0280
	s_mov_b64 exec, s[36:37]                                   // 000000006414: BEFE0124
	v_mov_b32_e32 v6, v50                                      // 000000006418: 7E0C0332
	s_mov_b64 s[60:61], 0                                      // 00000000641C: BEBC0180
	v_readlane_b32 s82, v3, 0                                  // 000000006420: D2890052 00010103
	s_and_b32 s82, s82, 0xffffff                               // 000000006428: 8652FF52 00FFFFFF
	s_cmp_lt_u32 s82, s66                                      // 000000006430: BF0A4252
	s_cselect_b32 s20, s36, s60                                // 000000006434: 85143C24
	v_readlane_b32 s82, v3, 1                                  // 000000006438: D2890052 00010303
	s_and_b32 s82, s82, 0xffffff                               // 000000006440: 8652FF52 00FFFFFF
	s_cmp_lt_u32 s82, s66                                      // 000000006448: BF0A4252
	s_cselect_b32 s21, s36, s60                                // 00000000644C: 85153C24
	s_mov_b64 exec, s[20:21]                                   // 000000006450: BEFE0114
	global_atomic_add_f32 v6, v86, s[8:9] offset:8             // 000000006454: DD348008 00085606
	s_mov_b64 exec, s[36:37]                                   // 00000000645C: BEFE0124
	v_mov_b32_e32 v6, v51                                      // 000000006460: 7E0C0333
	s_mov_b64 s[60:61], 0                                      // 000000006464: BEBC0180
	v_readlane_b32 s82, v3, 2                                  // 000000006468: D2890052 00010503
	s_and_b32 s82, s82, 0xffffff                               // 000000006470: 8652FF52 00FFFFFF
	s_cmp_lt_u32 s82, s66                                      // 000000006478: BF0A4252
	s_cselect_b32 s20, s36, s60                                // 00000000647C: 85143C24
	v_readlane_b32 s82, v3, 3                                  // 000000006480: D2890052 00010703
	s_and_b32 s82, s82, 0xffffff                               // 000000006488: 8652FF52 00FFFFFF
	s_cmp_lt_u32 s82, s66                                      // 000000006490: BF0A4252
	s_cselect_b32 s21, s36, s60                                // 000000006494: 85153C24
	s_mov_b64 exec, s[20:21]                                   // 000000006498: BEFE0114
	global_atomic_add_f32 v6, v87, s[8:9] offset:8             // 00000000649C: DD348008 00085706
	s_mov_b64 exec, s[36:37]                                   // 0000000064A4: BEFE0124
	v_mov_b32_e32 v6, v52                                      // 0000000064A8: 7E0C0334
	s_mov_b64 s[60:61], 0                                      // 0000000064AC: BEBC0180
	v_readlane_b32 s82, v3, 4                                  // 0000000064B0: D2890052 00010903
	s_and_b32 s82, s82, 0xffffff                               // 0000000064B8: 8652FF52 00FFFFFF
	s_cmp_lt_u32 s82, s66                                      // 0000000064C0: BF0A4252
	s_cselect_b32 s20, s36, s60                                // 0000000064C4: 85143C24
	v_readlane_b32 s82, v3, 5                                  // 0000000064C8: D2890052 00010B03
	s_and_b32 s82, s82, 0xffffff                               // 0000000064D0: 8652FF52 00FFFFFF
	s_cmp_lt_u32 s82, s66                                      // 0000000064D8: BF0A4252
	s_cselect_b32 s21, s36, s60                                // 0000000064DC: 85153C24
	s_mov_b64 exec, s[20:21]                                   // 0000000064E0: BEFE0114
	global_atomic_add_f32 v6, v90, s[8:9] offset:8             // 0000000064E4: DD348008 00085A06
	s_mov_b64 exec, s[36:37]                                   // 0000000064EC: BEFE0124
	v_mov_b32_e32 v6, v53                                      // 0000000064F0: 7E0C0335
	s_mov_b64 s[60:61], 0                                      // 0000000064F4: BEBC0180
	v_readlane_b32 s82, v3, 6                                  // 0000000064F8: D2890052 00010D03
	s_and_b32 s82, s82, 0xffffff                               // 000000006500: 8652FF52 00FFFFFF
	s_cmp_lt_u32 s82, s66                                      // 000000006508: BF0A4252
	s_cselect_b32 s20, s36, s60                                // 00000000650C: 85143C24
	v_readlane_b32 s82, v3, 7                                  // 000000006510: D2890052 00010F03
	s_and_b32 s82, s82, 0xffffff                               // 000000006518: 8652FF52 00FFFFFF
	s_cmp_lt_u32 s82, s66                                      // 000000006520: BF0A4252
	s_cselect_b32 s21, s36, s60                                // 000000006524: 85153C24
	s_mov_b64 exec, s[20:21]                                   // 000000006528: BEFE0114
	global_atomic_add_f32 v6, v91, s[8:9] offset:8             // 00000000652C: DD348008 00085B06
	s_mov_b64 exec, s[36:37]                                   // 000000006534: BEFE0124
	v_mov_b32_e32 v6, v54                                      // 000000006538: 7E0C0336
	s_mov_b64 s[60:61], 0                                      // 00000000653C: BEBC0180
	v_readlane_b32 s82, v3, 8                                  // 000000006540: D2890052 00011103
	s_and_b32 s82, s82, 0xffffff                               // 000000006548: 8652FF52 00FFFFFF
	s_cmp_lt_u32 s82, s66                                      // 000000006550: BF0A4252
	s_cselect_b32 s20, s36, s60                                // 000000006554: 85143C24
	v_readlane_b32 s82, v3, 9                                  // 000000006558: D2890052 00011303
	s_and_b32 s82, s82, 0xffffff                               // 000000006560: 8652FF52 00FFFFFF
	s_cmp_lt_u32 s82, s66                                      // 000000006568: BF0A4252
	s_cselect_b32 s21, s36, s60                                // 00000000656C: 85153C24
	s_mov_b64 exec, s[20:21]                                   // 000000006570: BEFE0114
	global_atomic_add_f32 v6, v94, s[8:9] offset:8             // 000000006574: DD348008 00085E06
	s_mov_b64 exec, s[36:37]                                   // 00000000657C: BEFE0124
	v_mov_b32_e32 v6, v55                                      // 000000006580: 7E0C0337
	s_mov_b64 s[60:61], 0                                      // 000000006584: BEBC0180
	v_readlane_b32 s82, v3, 10                                 // 000000006588: D2890052 00011503
	s_and_b32 s82, s82, 0xffffff                               // 000000006590: 8652FF52 00FFFFFF
	s_cmp_lt_u32 s82, s66                                      // 000000006598: BF0A4252
	s_cselect_b32 s20, s36, s60                                // 00000000659C: 85143C24
	v_readlane_b32 s82, v3, 11                                 // 0000000065A0: D2890052 00011703
	s_and_b32 s82, s82, 0xffffff                               // 0000000065A8: 8652FF52 00FFFFFF
	s_cmp_lt_u32 s82, s66                                      // 0000000065B0: BF0A4252
	s_cselect_b32 s21, s36, s60                                // 0000000065B4: 85153C24
	s_mov_b64 exec, s[20:21]                                   // 0000000065B8: BEFE0114
	global_atomic_add_f32 v6, v95, s[8:9] offset:8             // 0000000065BC: DD348008 00085F06
	s_mov_b64 exec, s[36:37]                                   // 0000000065C4: BEFE0124
	v_mov_b32_e32 v6, v56                                      // 0000000065C8: 7E0C0338
	s_mov_b64 s[60:61], 0                                      // 0000000065CC: BEBC0180
	v_readlane_b32 s82, v3, 12                                 // 0000000065D0: D2890052 00011903
	s_and_b32 s82, s82, 0xffffff                               // 0000000065D8: 8652FF52 00FFFFFF
	s_cmp_lt_u32 s82, s66                                      // 0000000065E0: BF0A4252
	s_cselect_b32 s20, s36, s60                                // 0000000065E4: 85143C24
	v_readlane_b32 s82, v3, 13                                 // 0000000065E8: D2890052 00011B03
	s_and_b32 s82, s82, 0xffffff                               // 0000000065F0: 8652FF52 00FFFFFF
	s_cmp_lt_u32 s82, s66                                      // 0000000065F8: BF0A4252
	s_cselect_b32 s21, s36, s60                                // 0000000065FC: 85153C24
	s_mov_b64 exec, s[20:21]                                   // 000000006600: BEFE0114
	global_atomic_add_f32 v6, v98, s[8:9] offset:8             // 000000006604: DD348008 00086206
	s_mov_b64 exec, s[36:37]                                   // 00000000660C: BEFE0124
	v_mov_b32_e32 v6, v57                                      // 000000006610: 7E0C0339
	s_mov_b64 s[60:61], 0                                      // 000000006614: BEBC0180
	v_readlane_b32 s82, v3, 14                                 // 000000006618: D2890052 00011D03
	s_and_b32 s82, s82, 0xffffff                               // 000000006620: 8652FF52 00FFFFFF
	s_cmp_lt_u32 s82, s66                                      // 000000006628: BF0A4252
	s_cselect_b32 s20, s36, s60                                // 00000000662C: 85143C24
	v_readlane_b32 s82, v3, 15                                 // 000000006630: D2890052 00011F03
	s_and_b32 s82, s82, 0xffffff                               // 000000006638: 8652FF52 00FFFFFF
	s_cmp_lt_u32 s82, s66                                      // 000000006640: BF0A4252
	s_cselect_b32 s21, s36, s60                                // 000000006644: 85153C24
	s_mov_b64 exec, s[20:21]                                   // 000000006648: BEFE0114
	global_atomic_add_f32 v6, v99, s[8:9] offset:8             // 00000000664C: DD348008 00086306
	s_mov_b64 exec, s[36:37]                                   // 000000006654: BEFE0124
	v_mov_b32_e32 v6, v58                                      // 000000006658: 7E0C033A
	s_mov_b64 s[60:61], 0                                      // 00000000665C: BEBC0180
	v_readlane_b32 s82, v3, 16                                 // 000000006660: D2890052 00012103
	s_and_b32 s82, s82, 0xffffff                               // 000000006668: 8652FF52 00FFFFFF
	s_cmp_lt_u32 s82, s66                                      // 000000006670: BF0A4252
	s_cselect_b32 s20, s36, s60                                // 000000006674: 85143C24
	v_readlane_b32 s82, v3, 17                                 // 000000006678: D2890052 00012303
	s_and_b32 s82, s82, 0xffffff                               // 000000006680: 8652FF52 00FFFFFF
	s_cmp_lt_u32 s82, s66                                      // 000000006688: BF0A4252
	s_cselect_b32 s21, s36, s60                                // 00000000668C: 85153C24
	s_mov_b64 exec, s[20:21]                                   // 000000006690: BEFE0114
	global_atomic_add_f32 v6, v102, s[8:9] offset:8            // 000000006694: DD348008 00086606
	s_mov_b64 exec, s[36:37]                                   // 00000000669C: BEFE0124
	v_mov_b32_e32 v6, v59                                      // 0000000066A0: 7E0C033B
	s_mov_b64 s[60:61], 0                                      // 0000000066A4: BEBC0180
	v_readlane_b32 s82, v3, 18                                 // 0000000066A8: D2890052 00012503
	s_and_b32 s82, s82, 0xffffff                               // 0000000066B0: 8652FF52 00FFFFFF
	s_cmp_lt_u32 s82, s66                                      // 0000000066B8: BF0A4252
	s_cselect_b32 s20, s36, s60                                // 0000000066BC: 85143C24
	v_readlane_b32 s82, v3, 19                                 // 0000000066C0: D2890052 00012703
	s_and_b32 s82, s82, 0xffffff                               // 0000000066C8: 8652FF52 00FFFFFF
	s_cmp_lt_u32 s82, s66                                      // 0000000066D0: BF0A4252
	s_cselect_b32 s21, s36, s60                                // 0000000066D4: 85153C24
	s_mov_b64 exec, s[20:21]                                   // 0000000066D8: BEFE0114
	global_atomic_add_f32 v6, v103, s[8:9] offset:8            // 0000000066DC: DD348008 00086706
	s_mov_b64 exec, s[36:37]                                   // 0000000066E4: BEFE0124
	s_branch label_1BDB                                        // 0000000066E8: BF820C9D

00000000000066ec <label_0F3E>:
	s_waitcnt vmcnt(12) lgkmcnt(0)                             // 0000000066EC: BF8C007C
	v_mfma_f32_16x16x32_fp8_fp8 v[64:67], a[80:81], a[0:1], v[64:67]// 0000000066F0: D3F30040 1D020150
	buffer_load_dwordx4 a[96:99], v60, s[24:27], 0 offen       // 0000000066F8: E05C1000 8086603C
	v_mfma_f32_16x16x32_fp8_fp8 v[64:67], a[82:83], a[2:3], v[64:67]// 000000006700: D3F30040 1D020552
	v_mfma_f32_16x16x32_fp8_fp8 v[64:67], a[84:85], a[4:5], v[64:67]// 000000006708: D3F30040 1D020954
	v_mfma_f32_16x16x32_fp8_fp8 v[64:67], a[86:87], a[6:7], v[64:67]// 000000006710: D3F30040 1D020D56
	v_mfma_f32_16x16x32_fp8_fp8 v[68:71], a[80:81], a[8:9], v[68:71]// 000000006718: D3F30044 1D121150
	buffer_load_dwordx4 a[100:103], v60, s[24:27], 0 offen offset:1024// 000000006720: E05C1400 8086643C
	buffer_load_dword v50, s[20:23], 0 offen lds               // 000000006728: E0511000 80050032
	s_add_u32 m0, 0x100, s50                                   // 000000006730: 807C32FF 00000100
	v_mfma_f32_16x16x32_fp8_fp8 v[68:71], a[82:83], a[10:11], v[68:71]// 000000006738: D3F30044 1D121552
	v_mfma_f32_16x16x32_fp8_fp8 v[68:71], a[84:85], a[12:13], v[68:71]// 000000006740: D3F30044 1D121954
	buffer_load_dword v51, s[20:23], 0 offen lds               // 000000006748: E0511000 80050033
	s_add_u32 m0, 0x200, s50                                   // 000000006750: 807C32FF 00000200
	v_mfma_f32_16x16x32_fp8_fp8 v[68:71], a[86:87], a[14:15], v[68:71]// 000000006758: D3F30044 1D121D56
	v_mfma_f32_16x16x32_fp8_fp8 v[72:75], a[80:81], a[16:17], v[72:75]// 000000006760: D3F30048 1D222150
	buffer_load_dword v52, s[20:23], 0 offen lds               // 000000006768: E0511000 80050034
	s_add_u32 m0, 0x300, s50                                   // 000000006770: 807C32FF 00000300
	v_mfma_f32_16x16x32_fp8_fp8 v[72:75], a[82:83], a[18:19], v[72:75]// 000000006778: D3F30048 1D222552
	v_mfma_f32_16x16x32_fp8_fp8 v[72:75], a[84:85], a[20:21], v[72:75]// 000000006780: D3F30048 1D222954
	buffer_load_dword v53, s[20:23], 0 offen lds               // 000000006788: E0511000 80050035
	s_add_u32 m0, 0x400, s50                                   // 000000006790: 807C32FF 00000400
	v_mfma_f32_16x16x32_fp8_fp8 v[72:75], a[86:87], a[22:23], v[72:75]// 000000006798: D3F30048 1D222D56
	v_mfma_f32_16x16x32_fp8_fp8 v[76:79], a[80:81], a[24:25], v[76:79]// 0000000067A0: D3F3004C 1D323150
	buffer_load_dword v54, s[20:23], 0 offen lds               // 0000000067A8: E0511000 80050036
	s_add_u32 m0, 0x500, s50                                   // 0000000067B0: 807C32FF 00000500
	v_mfma_f32_16x16x32_fp8_fp8 v[76:79], a[82:83], a[26:27], v[76:79]// 0000000067B8: D3F3004C 1D323552
	v_mfma_f32_16x16x32_fp8_fp8 v[76:79], a[84:85], a[28:29], v[76:79]// 0000000067C0: D3F3004C 1D323954
	buffer_load_dword v55, s[20:23], 0 offen lds               // 0000000067C8: E0511000 80050037
	s_add_u32 m0, 0x600, s50                                   // 0000000067D0: 807C32FF 00000600
	v_mfma_f32_16x16x32_fp8_fp8 v[76:79], a[86:87], a[30:31], v[76:79]// 0000000067D8: D3F3004C 1D323D56
	v_mfma_f32_16x16x32_fp8_fp8 v[80:83], a[80:81], a[32:33], v[80:83]// 0000000067E0: D3F30050 1D424150
	buffer_load_dword v56, s[20:23], 0 offen lds               // 0000000067E8: E0511000 80050038
	s_add_u32 m0, 0x700, s50                                   // 0000000067F0: 807C32FF 00000700
	v_mfma_f32_16x16x32_fp8_fp8 v[80:83], a[82:83], a[34:35], v[80:83]// 0000000067F8: D3F30050 1D424552
	v_mfma_f32_16x16x32_fp8_fp8 v[80:83], a[84:85], a[36:37], v[80:83]// 000000006800: D3F30050 1D424954
	buffer_load_dword v57, s[20:23], 0 offen lds               // 000000006808: E0511000 80050039
	s_add_u32 m0, 0x800, s50                                   // 000000006810: 807C32FF 00000800
	v_mfma_f32_16x16x32_fp8_fp8 v[80:83], a[86:87], a[38:39], v[80:83]// 000000006818: D3F30050 1D424D56
	buffer_load_dword v58, s[20:23], 0 offen lds               // 000000006820: E0511000 8005003A
	s_add_u32 m0, 0x900, s50                                   // 000000006828: 807C32FF 00000900
	buffer_load_dword v59, s[20:23], 0 offen lds               // 000000006830: E0511000 8005003B
	s_add_u32 m0, 0, s48                                       // 000000006838: 807C3080
	s_waitcnt vmcnt(12)                                        // 00000000683C: BF8C0F7C
	s_barrier                                                  // 000000006840: BF8A0000
	v_mfma_f32_16x16x32_fp8_fp8 v[84:87], a[88:89], a[0:1], v[84:87]// 000000006844: D3F30054 1D520158
	buffer_load_dwordx4 a[80:83], v60, s[84:87], 0 offen       // 00000000684C: E05C1000 8095503C
	v_mfma_f32_16x16x32_fp8_fp8 v[84:87], a[90:91], a[2:3], v[84:87]// 000000006854: D3F30054 1D52055A
	v_mfma_f32_16x16x32_fp8_fp8 v[84:87], a[92:93], a[4:5], v[84:87]// 00000000685C: D3F30054 1D52095C
	ds_read_b128 a[40:43], v2 offset:10368                     // 000000006864: DBFE2880 28000002
	ds_read_b128 a[44:47], v2 offset:10432                     // 00000000686C: DBFE28C0 2C000002
	v_mfma_f32_16x16x32_fp8_fp8 v[84:87], a[94:95], a[6:7], v[84:87]// 000000006874: D3F30054 1D520D5E
	v_mfma_f32_16x16x32_fp8_fp8 v[88:91], a[88:89], a[8:9], v[88:91]// 00000000687C: D3F30058 1D621158
	buffer_load_dwordx4 a[84:87], v60, s[84:87], 0 offen offset:1024// 000000006884: E05C1400 8095543C
	v_mfma_f32_16x16x32_fp8_fp8 v[88:91], a[90:91], a[10:11], v[88:91]// 00000000688C: D3F30058 1D62155A
	v_mfma_f32_16x16x32_fp8_fp8 v[88:91], a[92:93], a[12:13], v[88:91]// 000000006894: D3F30058 1D62195C
	ds_read_b128 a[48:51], v2 offset:10880                     // 00000000689C: DBFE2A80 30000002
	ds_read_b128 a[52:55], v2 offset:10944                     // 0000000068A4: DBFE2AC0 34000002
	v_mfma_f32_16x16x32_fp8_fp8 v[88:91], a[94:95], a[14:15], v[88:91]// 0000000068AC: D3F30058 1D621D5E
	v_mfma_f32_16x16x32_fp8_fp8 v[92:95], a[88:89], a[16:17], v[92:95]// 0000000068B4: D3F3005C 1D722158
	v_mfma_f32_16x16x32_fp8_fp8 v[92:95], a[90:91], a[18:19], v[92:95]// 0000000068BC: D3F3005C 1D72255A
	v_mfma_f32_16x16x32_fp8_fp8 v[92:95], a[92:93], a[20:21], v[92:95]// 0000000068C4: D3F3005C 1D72295C
	ds_read_b128 a[56:59], v2 offset:11392                     // 0000000068CC: DBFE2C80 38000002
	ds_read_b128 a[60:63], v2 offset:11456                     // 0000000068D4: DBFE2CC0 3C000002
	v_mfma_f32_16x16x32_fp8_fp8 v[92:95], a[94:95], a[22:23], v[92:95]// 0000000068DC: D3F3005C 1D722D5E
	v_mfma_f32_16x16x32_fp8_fp8 v[96:99], a[88:89], a[24:25], v[96:99]// 0000000068E4: D3F30060 1D823158
	s_add_u32 s60, 0x180, s80                                  // 0000000068EC: 803C50FF 00000180
	s_cmp_lt_u32 s60, s81                                      // 0000000068F4: BF0A513C
	s_cselect_b32 s57, s57, 0                                  // 0000000068F8: 85398039
	v_mfma_f32_16x16x32_fp8_fp8 v[96:99], a[90:91], a[26:27], v[96:99]// 0000000068FC: D3F30060 1D82355A
	s_add_u32 s60, 0x100, s80                                  // 000000006904: 803C50FF 00000100
	s_cmp_lt_u32 s60, s81                                      // 00000000690C: BF0A513C
	s_cselect_b32 s58, s58, 0                                  // 000000006910: 853A803A
	v_mfma_f32_16x16x32_fp8_fp8 v[96:99], a[92:93], a[28:29], v[96:99]// 000000006914: D3F30060 1D82395C
	ds_read_b128 a[64:67], v2 offset:11904                     // 00000000691C: DBFE2E80 40000002
	ds_read_b128 a[68:71], v2 offset:11968                     // 000000006924: DBFE2EC0 44000002
	s_add_u32 s60, 0x100, s80                                  // 00000000692C: 803C50FF 00000100
	s_cmp_lt_u32 s60, s81                                      // 000000006934: BF0A513C
	s_cselect_b32 s83, s83, 0                                  // 000000006938: 85538053
	v_mfma_f32_16x16x32_fp8_fp8 v[96:99], a[94:95], a[30:31], v[96:99]// 00000000693C: D3F30060 1D823D5E
	s_add_u32 s24, s58, s24                                    // 000000006944: 8018183A
	s_addc_u32 s25, 0, s25                                     // 000000006948: 82191980
	v_mfma_f32_16x16x32_fp8_fp8 v[100:103], a[88:89], a[32:33], v[100:103]// 00000000694C: D3F30064 1D924158
	s_add_u32 s20, s57, s20                                    // 000000006954: 80141439
	s_addc_u32 s21, 0, s21                                     // 000000006958: 82151580
	v_mfma_f32_16x16x32_fp8_fp8 v[100:103], a[90:91], a[34:35], v[100:103]// 00000000695C: D3F30064 1D92455A
	s_add_u32 s84, s83, s84                                    // 000000006964: 80545453
	s_addc_u32 s85, 0, s85                                     // 000000006968: 82555580
	v_mfma_f32_16x16x32_fp8_fp8 v[100:103], a[92:93], a[36:37], v[100:103]// 00000000696C: D3F30064 1D92495C
	ds_read_b128 a[72:75], v2 offset:12416                     // 000000006974: DBFE3080 48000002
	ds_read_b128 a[76:79], v2 offset:12480                     // 00000000697C: DBFE30C0 4C000002
	v_mfma_f32_16x16x32_fp8_fp8 v[100:103], a[94:95], a[38:39], v[100:103]// 000000006984: D3F30064 1D924D5E
	s_addk_i32 s80, 0x80                                       // 00000000698C: B7500080
	s_cmp_lt_i32 s80, s81                                      // 000000006990: BF045150
	s_cbranch_scc0 label_1341                                  // 000000006994: BF840358
	s_waitcnt vmcnt(12) lgkmcnt(0)                             // 000000006998: BF8C007C
	v_mfma_f32_16x16x32_fp8_fp8 v[64:67], a[96:97], a[40:41], v[64:67]// 00000000699C: D3F30040 1D025160
	buffer_load_dwordx4 a[88:91], v60, s[24:27], 0 offen       // 0000000069A4: E05C1000 8086583C
	v_mfma_f32_16x16x32_fp8_fp8 v[64:67], a[98:99], a[42:43], v[64:67]// 0000000069AC: D3F30040 1D025562
	v_mfma_f32_16x16x32_fp8_fp8 v[64:67], a[100:101], a[44:45], v[64:67]// 0000000069B4: D3F30040 1D025964
	v_mfma_f32_16x16x32_fp8_fp8 v[64:67], a[102:103], a[46:47], v[64:67]// 0000000069BC: D3F30040 1D025D66
	v_mfma_f32_16x16x32_fp8_fp8 v[68:71], a[96:97], a[48:49], v[68:71]// 0000000069C4: D3F30044 1D126160
	buffer_load_dwordx4 a[92:95], v60, s[24:27], 0 offen offset:1024// 0000000069CC: E05C1400 80865C3C
	buffer_load_dword v50, s[20:23], 0 offen lds               // 0000000069D4: E0511000 80050032
	s_add_u32 m0, 0x100, s48                                   // 0000000069DC: 807C30FF 00000100
	v_mfma_f32_16x16x32_fp8_fp8 v[68:71], a[98:99], a[50:51], v[68:71]// 0000000069E4: D3F30044 1D126562
	v_mfma_f32_16x16x32_fp8_fp8 v[68:71], a[100:101], a[52:53], v[68:71]// 0000000069EC: D3F30044 1D126964
	buffer_load_dword v51, s[20:23], 0 offen lds               // 0000000069F4: E0511000 80050033
	s_add_u32 m0, 0x200, s48                                   // 0000000069FC: 807C30FF 00000200
	v_mfma_f32_16x16x32_fp8_fp8 v[68:71], a[102:103], a[54:55], v[68:71]// 000000006A04: D3F30044 1D126D66
	v_mfma_f32_16x16x32_fp8_fp8 v[72:75], a[96:97], a[56:57], v[72:75]// 000000006A0C: D3F30048 1D227160
	buffer_load_dword v52, s[20:23], 0 offen lds               // 000000006A14: E0511000 80050034
	s_add_u32 m0, 0x300, s48                                   // 000000006A1C: 807C30FF 00000300
	v_mfma_f32_16x16x32_fp8_fp8 v[72:75], a[98:99], a[58:59], v[72:75]// 000000006A24: D3F30048 1D227562
	v_mfma_f32_16x16x32_fp8_fp8 v[72:75], a[100:101], a[60:61], v[72:75]// 000000006A2C: D3F30048 1D227964
	buffer_load_dword v53, s[20:23], 0 offen lds               // 000000006A34: E0511000 80050035
	s_add_u32 m0, 0x400, s48                                   // 000000006A3C: 807C30FF 00000400
	v_mfma_f32_16x16x32_fp8_fp8 v[72:75], a[102:103], a[62:63], v[72:75]// 000000006A44: D3F30048 1D227D66
	v_mfma_f32_16x16x32_fp8_fp8 v[76:79], a[96:97], a[64:65], v[76:79]// 000000006A4C: D3F3004C 1D328160
	buffer_load_dword v54, s[20:23], 0 offen lds               // 000000006A54: E0511000 80050036
	s_add_u32 m0, 0x500, s48                                   // 000000006A5C: 807C30FF 00000500
	v_mfma_f32_16x16x32_fp8_fp8 v[76:79], a[98:99], a[66:67], v[76:79]// 000000006A64: D3F3004C 1D328562
	v_mfma_f32_16x16x32_fp8_fp8 v[76:79], a[100:101], a[68:69], v[76:79]// 000000006A6C: D3F3004C 1D328964
	buffer_load_dword v55, s[20:23], 0 offen lds               // 000000006A74: E0511000 80050037
	s_add_u32 m0, 0x600, s48                                   // 000000006A7C: 807C30FF 00000600
	v_mfma_f32_16x16x32_fp8_fp8 v[76:79], a[102:103], a[70:71], v[76:79]// 000000006A84: D3F3004C 1D328D66
	v_mfma_f32_16x16x32_fp8_fp8 v[80:83], a[96:97], a[72:73], v[80:83]// 000000006A8C: D3F30050 1D429160
	buffer_load_dword v56, s[20:23], 0 offen lds               // 000000006A94: E0511000 80050038
	s_add_u32 m0, 0x700, s48                                   // 000000006A9C: 807C30FF 00000700
	v_mfma_f32_16x16x32_fp8_fp8 v[80:83], a[98:99], a[74:75], v[80:83]// 000000006AA4: D3F30050 1D429562
	v_mfma_f32_16x16x32_fp8_fp8 v[80:83], a[100:101], a[76:77], v[80:83]// 000000006AAC: D3F30050 1D429964
	buffer_load_dword v57, s[20:23], 0 offen lds               // 000000006AB4: E0511000 80050039
	s_add_u32 m0, 0x800, s48                                   // 000000006ABC: 807C30FF 00000800
	v_mfma_f32_16x16x32_fp8_fp8 v[80:83], a[102:103], a[78:79], v[80:83]// 000000006AC4: D3F30050 1D429D66
	buffer_load_dword v58, s[20:23], 0 offen lds               // 000000006ACC: E0511000 8005003A
	s_add_u32 m0, 0x900, s48                                   // 000000006AD4: 807C30FF 00000900
	buffer_load_dword v59, s[20:23], 0 offen lds               // 000000006ADC: E0511000 8005003B
	s_add_u32 m0, 0, s49                                       // 000000006AE4: 807C3180
	s_waitcnt vmcnt(12)                                        // 000000006AE8: BF8C0F7C
	s_barrier                                                  // 000000006AEC: BF8A0000
	v_mfma_f32_16x16x32_fp8_fp8 v[84:87], a[80:81], a[40:41], v[84:87]// 000000006AF0: D3F30054 1D525150
	buffer_load_dwordx4 a[96:99], v60, s[84:87], 0 offen       // 000000006AF8: E05C1000 8095603C
	v_mfma_f32_16x16x32_fp8_fp8 v[84:87], a[82:83], a[42:43], v[84:87]// 000000006B00: D3F30054 1D525552
	v_mfma_f32_16x16x32_fp8_fp8 v[84:87], a[84:85], a[44:45], v[84:87]// 000000006B08: D3F30054 1D525954
	ds_read_b128 a[0:3], v2 offset:20736                       // 000000006B10: DBFE5100 00000002
	ds_read_b128 a[4:7], v2 offset:20800                       // 000000006B18: DBFE5140 04000002
	v_mfma_f32_16x16x32_fp8_fp8 v[84:87], a[86:87], a[46:47], v[84:87]// 000000006B20: D3F30054 1D525D56
	v_mfma_f32_16x16x32_fp8_fp8 v[88:91], a[80:81], a[48:49], v[88:91]// 000000006B28: D3F30058 1D626150
	buffer_load_dwordx4 a[100:103], v60, s[84:87], 0 offen offset:1024// 000000006B30: E05C1400 8095643C
	v_mfma_f32_16x16x32_fp8_fp8 v[88:91], a[82:83], a[50:51], v[88:91]// 000000006B38: D3F30058 1D626552
	v_mfma_f32_16x16x32_fp8_fp8 v[88:91], a[84:85], a[52:53], v[88:91]// 000000006B40: D3F30058 1D626954
	ds_read_b128 a[8:11], v2 offset:21248                      // 000000006B48: DBFE5300 08000002
	ds_read_b128 a[12:15], v2 offset:21312                     // 000000006B50: DBFE5340 0C000002
	v_mfma_f32_16x16x32_fp8_fp8 v[88:91], a[86:87], a[54:55], v[88:91]// 000000006B58: D3F30058 1D626D56
	v_mfma_f32_16x16x32_fp8_fp8 v[92:95], a[80:81], a[56:57], v[92:95]// 000000006B60: D3F3005C 1D727150
	v_mfma_f32_16x16x32_fp8_fp8 v[92:95], a[82:83], a[58:59], v[92:95]// 000000006B68: D3F3005C 1D727552
	v_mfma_f32_16x16x32_fp8_fp8 v[92:95], a[84:85], a[60:61], v[92:95]// 000000006B70: D3F3005C 1D727954
	ds_read_b128 a[16:19], v2 offset:21760                     // 000000006B78: DBFE5500 10000002
	ds_read_b128 a[20:23], v2 offset:21824                     // 000000006B80: DBFE5540 14000002
	v_mfma_f32_16x16x32_fp8_fp8 v[92:95], a[86:87], a[62:63], v[92:95]// 000000006B88: D3F3005C 1D727D56
	v_mfma_f32_16x16x32_fp8_fp8 v[96:99], a[80:81], a[64:65], v[96:99]// 000000006B90: D3F30060 1D828150
	s_add_u32 s60, 0x180, s80                                  // 000000006B98: 803C50FF 00000180
	s_cmp_lt_u32 s60, s81                                      // 000000006BA0: BF0A513C
	s_cselect_b32 s57, s57, 0                                  // 000000006BA4: 85398039
	v_mfma_f32_16x16x32_fp8_fp8 v[96:99], a[82:83], a[66:67], v[96:99]// 000000006BA8: D3F30060 1D828552
	s_add_u32 s60, 0x100, s80                                  // 000000006BB0: 803C50FF 00000100
	s_cmp_lt_u32 s60, s81                                      // 000000006BB8: BF0A513C
	s_cselect_b32 s58, s58, 0                                  // 000000006BBC: 853A803A
	v_mfma_f32_16x16x32_fp8_fp8 v[96:99], a[84:85], a[68:69], v[96:99]// 000000006BC0: D3F30060 1D828954
	ds_read_b128 a[24:27], v2 offset:22272                     // 000000006BC8: DBFE5700 18000002
	ds_read_b128 a[28:31], v2 offset:22336                     // 000000006BD0: DBFE5740 1C000002
	s_add_u32 s60, 0x100, s80                                  // 000000006BD8: 803C50FF 00000100
	s_cmp_lt_u32 s60, s81                                      // 000000006BE0: BF0A513C
	s_cselect_b32 s83, s83, 0                                  // 000000006BE4: 85538053
	v_mfma_f32_16x16x32_fp8_fp8 v[96:99], a[86:87], a[70:71], v[96:99]// 000000006BE8: D3F30060 1D828D56
	s_add_u32 s24, s58, s24                                    // 000000006BF0: 8018183A
	s_addc_u32 s25, 0, s25                                     // 000000006BF4: 82191980
	v_mfma_f32_16x16x32_fp8_fp8 v[100:103], a[80:81], a[72:73], v[100:103]// 000000006BF8: D3F30064 1D929150
	s_add_u32 s20, s57, s20                                    // 000000006C00: 80141439
	s_addc_u32 s21, 0, s21                                     // 000000006C04: 82151580
	v_mfma_f32_16x16x32_fp8_fp8 v[100:103], a[82:83], a[74:75], v[100:103]// 000000006C08: D3F30064 1D929552
	s_add_u32 s84, s83, s84                                    // 000000006C10: 80545453
	s_addc_u32 s85, 0, s85                                     // 000000006C14: 82555580
	v_mfma_f32_16x16x32_fp8_fp8 v[100:103], a[84:85], a[76:77], v[100:103]// 000000006C18: D3F30064 1D929954
	ds_read_b128 a[32:35], v2 offset:22784                     // 000000006C20: DBFE5900 20000002
	ds_read_b128 a[36:39], v2 offset:22848                     // 000000006C28: DBFE5940 24000002
	v_mfma_f32_16x16x32_fp8_fp8 v[100:103], a[86:87], a[78:79], v[100:103]// 000000006C30: D3F30064 1D929D56
	s_addk_i32 s80, 0x80                                       // 000000006C38: B7500080
	s_cmp_lt_i32 s80, s81                                      // 000000006C3C: BF045150
	s_cbranch_scc0 label_1341                                  // 000000006C40: BF8402AD
	s_waitcnt vmcnt(12) lgkmcnt(0)                             // 000000006C44: BF8C007C
	v_mfma_f32_16x16x32_fp8_fp8 v[64:67], a[88:89], a[0:1], v[64:67]// 000000006C48: D3F30040 1D020158
	buffer_load_dwordx4 a[80:83], v60, s[24:27], 0 offen       // 000000006C50: E05C1000 8086503C
	v_mfma_f32_16x16x32_fp8_fp8 v[64:67], a[90:91], a[2:3], v[64:67]// 000000006C58: D3F30040 1D02055A
	v_mfma_f32_16x16x32_fp8_fp8 v[64:67], a[92:93], a[4:5], v[64:67]// 000000006C60: D3F30040 1D02095C
	v_mfma_f32_16x16x32_fp8_fp8 v[64:67], a[94:95], a[6:7], v[64:67]// 000000006C68: D3F30040 1D020D5E
	v_mfma_f32_16x16x32_fp8_fp8 v[68:71], a[88:89], a[8:9], v[68:71]// 000000006C70: D3F30044 1D121158
	buffer_load_dwordx4 a[84:87], v60, s[24:27], 0 offen offset:1024// 000000006C78: E05C1400 8086543C
	buffer_load_dword v50, s[20:23], 0 offen lds               // 000000006C80: E0511000 80050032
	s_add_u32 m0, 0x100, s49                                   // 000000006C88: 807C31FF 00000100
	v_mfma_f32_16x16x32_fp8_fp8 v[68:71], a[90:91], a[10:11], v[68:71]// 000000006C90: D3F30044 1D12155A
	v_mfma_f32_16x16x32_fp8_fp8 v[68:71], a[92:93], a[12:13], v[68:71]// 000000006C98: D3F30044 1D12195C
	buffer_load_dword v51, s[20:23], 0 offen lds               // 000000006CA0: E0511000 80050033
	s_add_u32 m0, 0x200, s49                                   // 000000006CA8: 807C31FF 00000200
	v_mfma_f32_16x16x32_fp8_fp8 v[68:71], a[94:95], a[14:15], v[68:71]// 000000006CB0: D3F30044 1D121D5E
	v_mfma_f32_16x16x32_fp8_fp8 v[72:75], a[88:89], a[16:17], v[72:75]// 000000006CB8: D3F30048 1D222158
	buffer_load_dword v52, s[20:23], 0 offen lds               // 000000006CC0: E0511000 80050034
	s_add_u32 m0, 0x300, s49                                   // 000000006CC8: 807C31FF 00000300
	v_mfma_f32_16x16x32_fp8_fp8 v[72:75], a[90:91], a[18:19], v[72:75]// 000000006CD0: D3F30048 1D22255A
	v_mfma_f32_16x16x32_fp8_fp8 v[72:75], a[92:93], a[20:21], v[72:75]// 000000006CD8: D3F30048 1D22295C
	buffer_load_dword v53, s[20:23], 0 offen lds               // 000000006CE0: E0511000 80050035
	s_add_u32 m0, 0x400, s49                                   // 000000006CE8: 807C31FF 00000400
	v_mfma_f32_16x16x32_fp8_fp8 v[72:75], a[94:95], a[22:23], v[72:75]// 000000006CF0: D3F30048 1D222D5E
	v_mfma_f32_16x16x32_fp8_fp8 v[76:79], a[88:89], a[24:25], v[76:79]// 000000006CF8: D3F3004C 1D323158
	buffer_load_dword v54, s[20:23], 0 offen lds               // 000000006D00: E0511000 80050036
	s_add_u32 m0, 0x500, s49                                   // 000000006D08: 807C31FF 00000500
	v_mfma_f32_16x16x32_fp8_fp8 v[76:79], a[90:91], a[26:27], v[76:79]// 000000006D10: D3F3004C 1D32355A
	v_mfma_f32_16x16x32_fp8_fp8 v[76:79], a[92:93], a[28:29], v[76:79]// 000000006D18: D3F3004C 1D32395C
	buffer_load_dword v55, s[20:23], 0 offen lds               // 000000006D20: E0511000 80050037
	s_add_u32 m0, 0x600, s49                                   // 000000006D28: 807C31FF 00000600
	v_mfma_f32_16x16x32_fp8_fp8 v[76:79], a[94:95], a[30:31], v[76:79]// 000000006D30: D3F3004C 1D323D5E
	v_mfma_f32_16x16x32_fp8_fp8 v[80:83], a[88:89], a[32:33], v[80:83]// 000000006D38: D3F30050 1D424158
	buffer_load_dword v56, s[20:23], 0 offen lds               // 000000006D40: E0511000 80050038
	s_add_u32 m0, 0x700, s49                                   // 000000006D48: 807C31FF 00000700
	v_mfma_f32_16x16x32_fp8_fp8 v[80:83], a[90:91], a[34:35], v[80:83]// 000000006D50: D3F30050 1D42455A
	v_mfma_f32_16x16x32_fp8_fp8 v[80:83], a[92:93], a[36:37], v[80:83]// 000000006D58: D3F30050 1D42495C
	buffer_load_dword v57, s[20:23], 0 offen lds               // 000000006D60: E0511000 80050039
	s_add_u32 m0, 0x800, s49                                   // 000000006D68: 807C31FF 00000800
	v_mfma_f32_16x16x32_fp8_fp8 v[80:83], a[94:95], a[38:39], v[80:83]// 000000006D70: D3F30050 1D424D5E
	buffer_load_dword v58, s[20:23], 0 offen lds               // 000000006D78: E0511000 8005003A
	s_add_u32 m0, 0x900, s49                                   // 000000006D80: 807C31FF 00000900
	buffer_load_dword v59, s[20:23], 0 offen lds               // 000000006D88: E0511000 8005003B
	s_add_u32 m0, 0, s50                                       // 000000006D90: 807C3280
	s_waitcnt vmcnt(12)                                        // 000000006D94: BF8C0F7C
	s_barrier                                                  // 000000006D98: BF8A0000
	v_mfma_f32_16x16x32_fp8_fp8 v[84:87], a[96:97], a[0:1], v[84:87]// 000000006D9C: D3F30054 1D520160
	buffer_load_dwordx4 a[88:91], v60, s[84:87], 0 offen       // 000000006DA4: E05C1000 8095583C
	v_mfma_f32_16x16x32_fp8_fp8 v[84:87], a[98:99], a[2:3], v[84:87]// 000000006DAC: D3F30054 1D520562
	v_mfma_f32_16x16x32_fp8_fp8 v[84:87], a[100:101], a[4:5], v[84:87]// 000000006DB4: D3F30054 1D520964
	ds_read_b128 a[40:43], v2                                  // 000000006DBC: DBFE0000 28000002
	ds_read_b128 a[44:47], v2 offset:64                        // 000000006DC4: DBFE0040 2C000002
	v_mfma_f32_16x16x32_fp8_fp8 v[84:87], a[102:103], a[6:7], v[84:87]// 000000006DCC: D3F30054 1D520D66
	v_mfma_f32_16x16x32_fp8_fp8 v[88:91], a[96:97], a[8:9], v[88:91]// 000000006DD4: D3F30058 1D621160
	buffer_load_dwordx4 a[92:95], v60, s[84:87], 0 offen offset:1024// 000000006DDC: E05C1400 80955C3C
	v_mfma_f32_16x16x32_fp8_fp8 v[88:91], a[98:99], a[10:11], v[88:91]// 000000006DE4: D3F30058 1D621562
	v_mfma_f32_16x16x32_fp8_fp8 v[88:91], a[100:101], a[12:13], v[88:91]// 000000006DEC: D3F30058 1D621964
	ds_read_b128 a[48:51], v2 offset:512                       // 000000006DF4: DBFE0200 30000002
	ds_read_b128 a[52:55], v2 offset:576                       // 000000006DFC: DBFE0240 34000002
	v_mfma_f32_16x16x32_fp8_fp8 v[88:91], a[102:103], a[14:15], v[88:91]// 000000006E04: D3F30058 1D621D66
	v_mfma_f32_16x16x32_fp8_fp8 v[92:95], a[96:97], a[16:17], v[92:95]// 000000006E0C: D3F3005C 1D722160
	v_mfma_f32_16x16x32_fp8_fp8 v[92:95], a[98:99], a[18:19], v[92:95]// 000000006E14: D3F3005C 1D722562
	v_mfma_f32_16x16x32_fp8_fp8 v[92:95], a[100:101], a[20:21], v[92:95]// 000000006E1C: D3F3005C 1D722964
	ds_read_b128 a[56:59], v2 offset:1024                      // 000000006E24: DBFE0400 38000002
	ds_read_b128 a[60:63], v2 offset:1088                      // 000000006E2C: DBFE0440 3C000002
	v_mfma_f32_16x16x32_fp8_fp8 v[92:95], a[102:103], a[22:23], v[92:95]// 000000006E34: D3F3005C 1D722D66
	v_mfma_f32_16x16x32_fp8_fp8 v[96:99], a[96:97], a[24:25], v[96:99]// 000000006E3C: D3F30060 1D823160
	s_add_u32 s60, 0x180, s80                                  // 000000006E44: 803C50FF 00000180
	s_cmp_lt_u32 s60, s81                                      // 000000006E4C: BF0A513C
	s_cselect_b32 s57, s57, 0                                  // 000000006E50: 85398039
	v_mfma_f32_16x16x32_fp8_fp8 v[96:99], a[98:99], a[26:27], v[96:99]// 000000006E54: D3F30060 1D823562
	s_add_u32 s60, 0x100, s80                                  // 000000006E5C: 803C50FF 00000100
	s_cmp_lt_u32 s60, s81                                      // 000000006E64: BF0A513C
	s_cselect_b32 s58, s58, 0                                  // 000000006E68: 853A803A
	v_mfma_f32_16x16x32_fp8_fp8 v[96:99], a[100:101], a[28:29], v[96:99]// 000000006E6C: D3F30060 1D823964
	ds_read_b128 a[64:67], v2 offset:1536                      // 000000006E74: DBFE0600 40000002
	ds_read_b128 a[68:71], v2 offset:1600                      // 000000006E7C: DBFE0640 44000002
	s_add_u32 s60, 0x100, s80                                  // 000000006E84: 803C50FF 00000100
	s_cmp_lt_u32 s60, s81                                      // 000000006E8C: BF0A513C
	s_cselect_b32 s83, s83, 0                                  // 000000006E90: 85538053
	v_mfma_f32_16x16x32_fp8_fp8 v[96:99], a[102:103], a[30:31], v[96:99]// 000000006E94: D3F30060 1D823D66
	s_add_u32 s24, s58, s24                                    // 000000006E9C: 8018183A
	s_addc_u32 s25, 0, s25                                     // 000000006EA0: 82191980
	v_mfma_f32_16x16x32_fp8_fp8 v[100:103], a[96:97], a[32:33], v[100:103]// 000000006EA4: D3F30064 1D924160
	s_add_u32 s20, s57, s20                                    // 000000006EAC: 80141439
	s_addc_u32 s21, 0, s21                                     // 000000006EB0: 82151580
	v_mfma_f32_16x16x32_fp8_fp8 v[100:103], a[98:99], a[34:35], v[100:103]// 000000006EB4: D3F30064 1D924562
	s_add_u32 s84, s83, s84                                    // 000000006EBC: 80545453
	s_addc_u32 s85, 0, s85                                     // 000000006EC0: 82555580
	v_mfma_f32_16x16x32_fp8_fp8 v[100:103], a[100:101], a[36:37], v[100:103]// 000000006EC4: D3F30064 1D924964
	ds_read_b128 a[72:75], v2 offset:2048                      // 000000006ECC: DBFE0800 48000002
	ds_read_b128 a[76:79], v2 offset:2112                      // 000000006ED4: DBFE0840 4C000002
	v_mfma_f32_16x16x32_fp8_fp8 v[100:103], a[102:103], a[38:39], v[100:103]// 000000006EDC: D3F30064 1D924D66
	s_addk_i32 s80, 0x80                                       // 000000006EE4: B7500080
	s_cmp_lt_i32 s80, s81                                      // 000000006EE8: BF045150
	s_cbranch_scc0 label_1341                                  // 000000006EEC: BF840202
	s_waitcnt vmcnt(12) lgkmcnt(0)                             // 000000006EF0: BF8C007C
	v_mfma_f32_16x16x32_fp8_fp8 v[64:67], a[80:81], a[40:41], v[64:67]// 000000006EF4: D3F30040 1D025150
	buffer_load_dwordx4 a[96:99], v60, s[24:27], 0 offen       // 000000006EFC: E05C1000 8086603C
	v_mfma_f32_16x16x32_fp8_fp8 v[64:67], a[82:83], a[42:43], v[64:67]// 000000006F04: D3F30040 1D025552
	v_mfma_f32_16x16x32_fp8_fp8 v[64:67], a[84:85], a[44:45], v[64:67]// 000000006F0C: D3F30040 1D025954
	v_mfma_f32_16x16x32_fp8_fp8 v[64:67], a[86:87], a[46:47], v[64:67]// 000000006F14: D3F30040 1D025D56
	v_mfma_f32_16x16x32_fp8_fp8 v[68:71], a[80:81], a[48:49], v[68:71]// 000000006F1C: D3F30044 1D126150
	buffer_load_dwordx4 a[100:103], v60, s[24:27], 0 offen offset:1024// 000000006F24: E05C1400 8086643C
	buffer_load_dword v50, s[20:23], 0 offen lds               // 000000006F2C: E0511000 80050032
	s_add_u32 m0, 0x100, s50                                   // 000000006F34: 807C32FF 00000100
	v_mfma_f32_16x16x32_fp8_fp8 v[68:71], a[82:83], a[50:51], v[68:71]// 000000006F3C: D3F30044 1D126552
	v_mfma_f32_16x16x32_fp8_fp8 v[68:71], a[84:85], a[52:53], v[68:71]// 000000006F44: D3F30044 1D126954
	buffer_load_dword v51, s[20:23], 0 offen lds               // 000000006F4C: E0511000 80050033
	s_add_u32 m0, 0x200, s50                                   // 000000006F54: 807C32FF 00000200
	v_mfma_f32_16x16x32_fp8_fp8 v[68:71], a[86:87], a[54:55], v[68:71]// 000000006F5C: D3F30044 1D126D56
	v_mfma_f32_16x16x32_fp8_fp8 v[72:75], a[80:81], a[56:57], v[72:75]// 000000006F64: D3F30048 1D227150
	buffer_load_dword v52, s[20:23], 0 offen lds               // 000000006F6C: E0511000 80050034
	s_add_u32 m0, 0x300, s50                                   // 000000006F74: 807C32FF 00000300
	v_mfma_f32_16x16x32_fp8_fp8 v[72:75], a[82:83], a[58:59], v[72:75]// 000000006F7C: D3F30048 1D227552
	v_mfma_f32_16x16x32_fp8_fp8 v[72:75], a[84:85], a[60:61], v[72:75]// 000000006F84: D3F30048 1D227954
	buffer_load_dword v53, s[20:23], 0 offen lds               // 000000006F8C: E0511000 80050035
	s_add_u32 m0, 0x400, s50                                   // 000000006F94: 807C32FF 00000400
	v_mfma_f32_16x16x32_fp8_fp8 v[72:75], a[86:87], a[62:63], v[72:75]// 000000006F9C: D3F30048 1D227D56
	v_mfma_f32_16x16x32_fp8_fp8 v[76:79], a[80:81], a[64:65], v[76:79]// 000000006FA4: D3F3004C 1D328150
	buffer_load_dword v54, s[20:23], 0 offen lds               // 000000006FAC: E0511000 80050036
	s_add_u32 m0, 0x500, s50                                   // 000000006FB4: 807C32FF 00000500
	v_mfma_f32_16x16x32_fp8_fp8 v[76:79], a[82:83], a[66:67], v[76:79]// 000000006FBC: D3F3004C 1D328552
	v_mfma_f32_16x16x32_fp8_fp8 v[76:79], a[84:85], a[68:69], v[76:79]// 000000006FC4: D3F3004C 1D328954
	buffer_load_dword v55, s[20:23], 0 offen lds               // 000000006FCC: E0511000 80050037
	s_add_u32 m0, 0x600, s50                                   // 000000006FD4: 807C32FF 00000600
	v_mfma_f32_16x16x32_fp8_fp8 v[76:79], a[86:87], a[70:71], v[76:79]// 000000006FDC: D3F3004C 1D328D56
	v_mfma_f32_16x16x32_fp8_fp8 v[80:83], a[80:81], a[72:73], v[80:83]// 000000006FE4: D3F30050 1D429150
	buffer_load_dword v56, s[20:23], 0 offen lds               // 000000006FEC: E0511000 80050038
	s_add_u32 m0, 0x700, s50                                   // 000000006FF4: 807C32FF 00000700
	v_mfma_f32_16x16x32_fp8_fp8 v[80:83], a[82:83], a[74:75], v[80:83]// 000000006FFC: D3F30050 1D429552
	v_mfma_f32_16x16x32_fp8_fp8 v[80:83], a[84:85], a[76:77], v[80:83]// 000000007004: D3F30050 1D429954
	buffer_load_dword v57, s[20:23], 0 offen lds               // 00000000700C: E0511000 80050039
	s_add_u32 m0, 0x800, s50                                   // 000000007014: 807C32FF 00000800
	v_mfma_f32_16x16x32_fp8_fp8 v[80:83], a[86:87], a[78:79], v[80:83]// 00000000701C: D3F30050 1D429D56
	buffer_load_dword v58, s[20:23], 0 offen lds               // 000000007024: E0511000 8005003A
	s_add_u32 m0, 0x900, s50                                   // 00000000702C: 807C32FF 00000900
	buffer_load_dword v59, s[20:23], 0 offen lds               // 000000007034: E0511000 8005003B
	s_add_u32 m0, 0, s48                                       // 00000000703C: 807C3080
	s_waitcnt vmcnt(12)                                        // 000000007040: BF8C0F7C
	s_barrier                                                  // 000000007044: BF8A0000
	v_mfma_f32_16x16x32_fp8_fp8 v[84:87], a[88:89], a[40:41], v[84:87]// 000000007048: D3F30054 1D525158
	buffer_load_dwordx4 a[80:83], v60, s[84:87], 0 offen       // 000000007050: E05C1000 8095503C
	v_mfma_f32_16x16x32_fp8_fp8 v[84:87], a[90:91], a[42:43], v[84:87]// 000000007058: D3F30054 1D52555A
	v_mfma_f32_16x16x32_fp8_fp8 v[84:87], a[92:93], a[44:45], v[84:87]// 000000007060: D3F30054 1D52595C
	ds_read_b128 a[0:3], v2 offset:10368                       // 000000007068: DBFE2880 00000002
	ds_read_b128 a[4:7], v2 offset:10432                       // 000000007070: DBFE28C0 04000002
	v_mfma_f32_16x16x32_fp8_fp8 v[84:87], a[94:95], a[46:47], v[84:87]// 000000007078: D3F30054 1D525D5E
	v_mfma_f32_16x16x32_fp8_fp8 v[88:91], a[88:89], a[48:49], v[88:91]// 000000007080: D3F30058 1D626158
	buffer_load_dwordx4 a[84:87], v60, s[84:87], 0 offen offset:1024// 000000007088: E05C1400 8095543C
	v_mfma_f32_16x16x32_fp8_fp8 v[88:91], a[90:91], a[50:51], v[88:91]// 000000007090: D3F30058 1D62655A
	v_mfma_f32_16x16x32_fp8_fp8 v[88:91], a[92:93], a[52:53], v[88:91]// 000000007098: D3F30058 1D62695C
	ds_read_b128 a[8:11], v2 offset:10880                      // 0000000070A0: DBFE2A80 08000002
	ds_read_b128 a[12:15], v2 offset:10944                     // 0000000070A8: DBFE2AC0 0C000002
	v_mfma_f32_16x16x32_fp8_fp8 v[88:91], a[94:95], a[54:55], v[88:91]// 0000000070B0: D3F30058 1D626D5E
	v_mfma_f32_16x16x32_fp8_fp8 v[92:95], a[88:89], a[56:57], v[92:95]// 0000000070B8: D3F3005C 1D727158
	v_mfma_f32_16x16x32_fp8_fp8 v[92:95], a[90:91], a[58:59], v[92:95]// 0000000070C0: D3F3005C 1D72755A
	v_mfma_f32_16x16x32_fp8_fp8 v[92:95], a[92:93], a[60:61], v[92:95]// 0000000070C8: D3F3005C 1D72795C
	ds_read_b128 a[16:19], v2 offset:11392                     // 0000000070D0: DBFE2C80 10000002
	ds_read_b128 a[20:23], v2 offset:11456                     // 0000000070D8: DBFE2CC0 14000002
	v_mfma_f32_16x16x32_fp8_fp8 v[92:95], a[94:95], a[62:63], v[92:95]// 0000000070E0: D3F3005C 1D727D5E
	v_mfma_f32_16x16x32_fp8_fp8 v[96:99], a[88:89], a[64:65], v[96:99]// 0000000070E8: D3F30060 1D828158
	s_add_u32 s60, 0x180, s80                                  // 0000000070F0: 803C50FF 00000180
	s_cmp_lt_u32 s60, s81                                      // 0000000070F8: BF0A513C
	s_cselect_b32 s57, s57, 0                                  // 0000000070FC: 85398039
	v_mfma_f32_16x16x32_fp8_fp8 v[96:99], a[90:91], a[66:67], v[96:99]// 000000007100: D3F30060 1D82855A
	s_add_u32 s60, 0x100, s80                                  // 000000007108: 803C50FF 00000100
	s_cmp_lt_u32 s60, s81                                      // 000000007110: BF0A513C
	s_cselect_b32 s58, s58, 0                                  // 000000007114: 853A803A
	v_mfma_f32_16x16x32_fp8_fp8 v[96:99], a[92:93], a[68:69], v[96:99]// 000000007118: D3F30060 1D82895C
	ds_read_b128 a[24:27], v2 offset:11904                     // 000000007120: DBFE2E80 18000002
	ds_read_b128 a[28:31], v2 offset:11968                     // 000000007128: DBFE2EC0 1C000002
	s_add_u32 s60, 0x100, s80                                  // 000000007130: 803C50FF 00000100
	s_cmp_lt_u32 s60, s81                                      // 000000007138: BF0A513C
	s_cselect_b32 s83, s83, 0                                  // 00000000713C: 85538053
	v_mfma_f32_16x16x32_fp8_fp8 v[96:99], a[94:95], a[70:71], v[96:99]// 000000007140: D3F30060 1D828D5E
	s_add_u32 s24, s58, s24                                    // 000000007148: 8018183A
	s_addc_u32 s25, 0, s25                                     // 00000000714C: 82191980
	v_mfma_f32_16x16x32_fp8_fp8 v[100:103], a[88:89], a[72:73], v[100:103]// 000000007150: D3F30064 1D929158
	s_add_u32 s20, s57, s20                                    // 000000007158: 80141439
	s_addc_u32 s21, 0, s21                                     // 00000000715C: 82151580
	v_mfma_f32_16x16x32_fp8_fp8 v[100:103], a[90:91], a[74:75], v[100:103]// 000000007160: D3F30064 1D92955A
	s_add_u32 s84, s83, s84                                    // 000000007168: 80545453
	s_addc_u32 s85, 0, s85                                     // 00000000716C: 82555580
	v_mfma_f32_16x16x32_fp8_fp8 v[100:103], a[92:93], a[76:77], v[100:103]// 000000007170: D3F30064 1D92995C
	ds_read_b128 a[32:35], v2 offset:12416                     // 000000007178: DBFE3080 20000002
	ds_read_b128 a[36:39], v2 offset:12480                     // 000000007180: DBFE30C0 24000002
	v_mfma_f32_16x16x32_fp8_fp8 v[100:103], a[94:95], a[78:79], v[100:103]// 000000007188: D3F30064 1D929D5E
	s_addk_i32 s80, 0x80                                       // 000000007190: B7500080
	s_cmp_lt_i32 s80, s81                                      // 000000007194: BF045150
	s_cbranch_scc0 label_1341                                  // 000000007198: BF840157
	s_waitcnt vmcnt(12) lgkmcnt(0)                             // 00000000719C: BF8C007C
	v_mfma_f32_16x16x32_fp8_fp8 v[64:67], a[96:97], a[0:1], v[64:67]// 0000000071A0: D3F30040 1D020160
	buffer_load_dwordx4 a[88:91], v60, s[24:27], 0 offen       // 0000000071A8: E05C1000 8086583C
	v_mfma_f32_16x16x32_fp8_fp8 v[64:67], a[98:99], a[2:3], v[64:67]// 0000000071B0: D3F30040 1D020562
	v_mfma_f32_16x16x32_fp8_fp8 v[64:67], a[100:101], a[4:5], v[64:67]// 0000000071B8: D3F30040 1D020964
	v_mfma_f32_16x16x32_fp8_fp8 v[64:67], a[102:103], a[6:7], v[64:67]// 0000000071C0: D3F30040 1D020D66
	v_mfma_f32_16x16x32_fp8_fp8 v[68:71], a[96:97], a[8:9], v[68:71]// 0000000071C8: D3F30044 1D121160
	buffer_load_dwordx4 a[92:95], v60, s[24:27], 0 offen offset:1024// 0000000071D0: E05C1400 80865C3C
	buffer_load_dword v50, s[20:23], 0 offen lds               // 0000000071D8: E0511000 80050032
	s_add_u32 m0, 0x100, s48                                   // 0000000071E0: 807C30FF 00000100
	v_mfma_f32_16x16x32_fp8_fp8 v[68:71], a[98:99], a[10:11], v[68:71]// 0000000071E8: D3F30044 1D121562
	v_mfma_f32_16x16x32_fp8_fp8 v[68:71], a[100:101], a[12:13], v[68:71]// 0000000071F0: D3F30044 1D121964
	buffer_load_dword v51, s[20:23], 0 offen lds               // 0000000071F8: E0511000 80050033
	s_add_u32 m0, 0x200, s48                                   // 000000007200: 807C30FF 00000200
	v_mfma_f32_16x16x32_fp8_fp8 v[68:71], a[102:103], a[14:15], v[68:71]// 000000007208: D3F30044 1D121D66
	v_mfma_f32_16x16x32_fp8_fp8 v[72:75], a[96:97], a[16:17], v[72:75]// 000000007210: D3F30048 1D222160
	buffer_load_dword v52, s[20:23], 0 offen lds               // 000000007218: E0511000 80050034
	s_add_u32 m0, 0x300, s48                                   // 000000007220: 807C30FF 00000300
	v_mfma_f32_16x16x32_fp8_fp8 v[72:75], a[98:99], a[18:19], v[72:75]// 000000007228: D3F30048 1D222562
	v_mfma_f32_16x16x32_fp8_fp8 v[72:75], a[100:101], a[20:21], v[72:75]// 000000007230: D3F30048 1D222964
	buffer_load_dword v53, s[20:23], 0 offen lds               // 000000007238: E0511000 80050035
	s_add_u32 m0, 0x400, s48                                   // 000000007240: 807C30FF 00000400
	v_mfma_f32_16x16x32_fp8_fp8 v[72:75], a[102:103], a[22:23], v[72:75]// 000000007248: D3F30048 1D222D66
	v_mfma_f32_16x16x32_fp8_fp8 v[76:79], a[96:97], a[24:25], v[76:79]// 000000007250: D3F3004C 1D323160
	buffer_load_dword v54, s[20:23], 0 offen lds               // 000000007258: E0511000 80050036
	s_add_u32 m0, 0x500, s48                                   // 000000007260: 807C30FF 00000500
	v_mfma_f32_16x16x32_fp8_fp8 v[76:79], a[98:99], a[26:27], v[76:79]// 000000007268: D3F3004C 1D323562
	v_mfma_f32_16x16x32_fp8_fp8 v[76:79], a[100:101], a[28:29], v[76:79]// 000000007270: D3F3004C 1D323964
	buffer_load_dword v55, s[20:23], 0 offen lds               // 000000007278: E0511000 80050037
	s_add_u32 m0, 0x600, s48                                   // 000000007280: 807C30FF 00000600
	v_mfma_f32_16x16x32_fp8_fp8 v[76:79], a[102:103], a[30:31], v[76:79]// 000000007288: D3F3004C 1D323D66
	v_mfma_f32_16x16x32_fp8_fp8 v[80:83], a[96:97], a[32:33], v[80:83]// 000000007290: D3F30050 1D424160
	buffer_load_dword v56, s[20:23], 0 offen lds               // 000000007298: E0511000 80050038
	s_add_u32 m0, 0x700, s48                                   // 0000000072A0: 807C30FF 00000700
	v_mfma_f32_16x16x32_fp8_fp8 v[80:83], a[98:99], a[34:35], v[80:83]// 0000000072A8: D3F30050 1D424562
	v_mfma_f32_16x16x32_fp8_fp8 v[80:83], a[100:101], a[36:37], v[80:83]// 0000000072B0: D3F30050 1D424964
	buffer_load_dword v57, s[20:23], 0 offen lds               // 0000000072B8: E0511000 80050039
	s_add_u32 m0, 0x800, s48                                   // 0000000072C0: 807C30FF 00000800
	v_mfma_f32_16x16x32_fp8_fp8 v[80:83], a[102:103], a[38:39], v[80:83]// 0000000072C8: D3F30050 1D424D66
	buffer_load_dword v58, s[20:23], 0 offen lds               // 0000000072D0: E0511000 8005003A
	s_add_u32 m0, 0x900, s48                                   // 0000000072D8: 807C30FF 00000900
	buffer_load_dword v59, s[20:23], 0 offen lds               // 0000000072E0: E0511000 8005003B
	s_add_u32 m0, 0, s49                                       // 0000000072E8: 807C3180
	s_waitcnt vmcnt(12)                                        // 0000000072EC: BF8C0F7C
	s_barrier                                                  // 0000000072F0: BF8A0000
	v_mfma_f32_16x16x32_fp8_fp8 v[84:87], a[80:81], a[0:1], v[84:87]// 0000000072F4: D3F30054 1D520150
	buffer_load_dwordx4 a[96:99], v60, s[84:87], 0 offen       // 0000000072FC: E05C1000 8095603C
	v_mfma_f32_16x16x32_fp8_fp8 v[84:87], a[82:83], a[2:3], v[84:87]// 000000007304: D3F30054 1D520552
	v_mfma_f32_16x16x32_fp8_fp8 v[84:87], a[84:85], a[4:5], v[84:87]// 00000000730C: D3F30054 1D520954
	ds_read_b128 a[40:43], v2 offset:20736                     // 000000007314: DBFE5100 28000002
	ds_read_b128 a[44:47], v2 offset:20800                     // 00000000731C: DBFE5140 2C000002
	v_mfma_f32_16x16x32_fp8_fp8 v[84:87], a[86:87], a[6:7], v[84:87]// 000000007324: D3F30054 1D520D56
	v_mfma_f32_16x16x32_fp8_fp8 v[88:91], a[80:81], a[8:9], v[88:91]// 00000000732C: D3F30058 1D621150
	buffer_load_dwordx4 a[100:103], v60, s[84:87], 0 offen offset:1024// 000000007334: E05C1400 8095643C
	v_mfma_f32_16x16x32_fp8_fp8 v[88:91], a[82:83], a[10:11], v[88:91]// 00000000733C: D3F30058 1D621552
	v_mfma_f32_16x16x32_fp8_fp8 v[88:91], a[84:85], a[12:13], v[88:91]// 000000007344: D3F30058 1D621954
	ds_read_b128 a[48:51], v2 offset:21248                     // 00000000734C: DBFE5300 30000002
	ds_read_b128 a[52:55], v2 offset:21312                     // 000000007354: DBFE5340 34000002
	v_mfma_f32_16x16x32_fp8_fp8 v[88:91], a[86:87], a[14:15], v[88:91]// 00000000735C: D3F30058 1D621D56
	v_mfma_f32_16x16x32_fp8_fp8 v[92:95], a[80:81], a[16:17], v[92:95]// 000000007364: D3F3005C 1D722150
	v_mfma_f32_16x16x32_fp8_fp8 v[92:95], a[82:83], a[18:19], v[92:95]// 00000000736C: D3F3005C 1D722552
	v_mfma_f32_16x16x32_fp8_fp8 v[92:95], a[84:85], a[20:21], v[92:95]// 000000007374: D3F3005C 1D722954
	ds_read_b128 a[56:59], v2 offset:21760                     // 00000000737C: DBFE5500 38000002
	ds_read_b128 a[60:63], v2 offset:21824                     // 000000007384: DBFE5540 3C000002
	v_mfma_f32_16x16x32_fp8_fp8 v[92:95], a[86:87], a[22:23], v[92:95]// 00000000738C: D3F3005C 1D722D56
	v_mfma_f32_16x16x32_fp8_fp8 v[96:99], a[80:81], a[24:25], v[96:99]// 000000007394: D3F30060 1D823150
	s_add_u32 s60, 0x180, s80                                  // 00000000739C: 803C50FF 00000180
	s_cmp_lt_u32 s60, s81                                      // 0000000073A4: BF0A513C
	s_cselect_b32 s57, s57, 0                                  // 0000000073A8: 85398039
	v_mfma_f32_16x16x32_fp8_fp8 v[96:99], a[82:83], a[26:27], v[96:99]// 0000000073AC: D3F30060 1D823552
	s_add_u32 s60, 0x100, s80                                  // 0000000073B4: 803C50FF 00000100
	s_cmp_lt_u32 s60, s81                                      // 0000000073BC: BF0A513C
	s_cselect_b32 s58, s58, 0                                  // 0000000073C0: 853A803A
	v_mfma_f32_16x16x32_fp8_fp8 v[96:99], a[84:85], a[28:29], v[96:99]// 0000000073C4: D3F30060 1D823954
	ds_read_b128 a[64:67], v2 offset:22272                     // 0000000073CC: DBFE5700 40000002
	ds_read_b128 a[68:71], v2 offset:22336                     // 0000000073D4: DBFE5740 44000002
	s_add_u32 s60, 0x100, s80                                  // 0000000073DC: 803C50FF 00000100
	s_cmp_lt_u32 s60, s81                                      // 0000000073E4: BF0A513C
	s_cselect_b32 s83, s83, 0                                  // 0000000073E8: 85538053
	v_mfma_f32_16x16x32_fp8_fp8 v[96:99], a[86:87], a[30:31], v[96:99]// 0000000073EC: D3F30060 1D823D56
	s_add_u32 s24, s58, s24                                    // 0000000073F4: 8018183A
	s_addc_u32 s25, 0, s25                                     // 0000000073F8: 82191980
	v_mfma_f32_16x16x32_fp8_fp8 v[100:103], a[80:81], a[32:33], v[100:103]// 0000000073FC: D3F30064 1D924150
	s_add_u32 s20, s57, s20                                    // 000000007404: 80141439
	s_addc_u32 s21, 0, s21                                     // 000000007408: 82151580
	v_mfma_f32_16x16x32_fp8_fp8 v[100:103], a[82:83], a[34:35], v[100:103]// 00000000740C: D3F30064 1D924552
	s_add_u32 s84, s83, s84                                    // 000000007414: 80545453
	s_addc_u32 s85, 0, s85                                     // 000000007418: 82555580
	v_mfma_f32_16x16x32_fp8_fp8 v[100:103], a[84:85], a[36:37], v[100:103]// 00000000741C: D3F30064 1D924954
	ds_read_b128 a[72:75], v2 offset:22784                     // 000000007424: DBFE5900 48000002
	ds_read_b128 a[76:79], v2 offset:22848                     // 00000000742C: DBFE5940 4C000002
	v_mfma_f32_16x16x32_fp8_fp8 v[100:103], a[86:87], a[38:39], v[100:103]// 000000007434: D3F30064 1D924D56
	s_addk_i32 s80, 0x80                                       // 00000000743C: B7500080
	s_cmp_lt_i32 s80, s81                                      // 000000007440: BF045150
	s_cbranch_scc0 label_1341                                  // 000000007444: BF8400AC
	s_waitcnt vmcnt(12) lgkmcnt(0)                             // 000000007448: BF8C007C
	v_mfma_f32_16x16x32_fp8_fp8 v[64:67], a[88:89], a[40:41], v[64:67]// 00000000744C: D3F30040 1D025158
	buffer_load_dwordx4 a[80:83], v60, s[24:27], 0 offen       // 000000007454: E05C1000 8086503C
	v_mfma_f32_16x16x32_fp8_fp8 v[64:67], a[90:91], a[42:43], v[64:67]// 00000000745C: D3F30040 1D02555A
	v_mfma_f32_16x16x32_fp8_fp8 v[64:67], a[92:93], a[44:45], v[64:67]// 000000007464: D3F30040 1D02595C
	v_mfma_f32_16x16x32_fp8_fp8 v[64:67], a[94:95], a[46:47], v[64:67]// 00000000746C: D3F30040 1D025D5E
	v_mfma_f32_16x16x32_fp8_fp8 v[68:71], a[88:89], a[48:49], v[68:71]// 000000007474: D3F30044 1D126158
	buffer_load_dwordx4 a[84:87], v60, s[24:27], 0 offen offset:1024// 00000000747C: E05C1400 8086543C
	buffer_load_dword v50, s[20:23], 0 offen lds               // 000000007484: E0511000 80050032
	s_add_u32 m0, 0x100, s49                                   // 00000000748C: 807C31FF 00000100
	v_mfma_f32_16x16x32_fp8_fp8 v[68:71], a[90:91], a[50:51], v[68:71]// 000000007494: D3F30044 1D12655A
	v_mfma_f32_16x16x32_fp8_fp8 v[68:71], a[92:93], a[52:53], v[68:71]// 00000000749C: D3F30044 1D12695C
	buffer_load_dword v51, s[20:23], 0 offen lds               // 0000000074A4: E0511000 80050033
	s_add_u32 m0, 0x200, s49                                   // 0000000074AC: 807C31FF 00000200
	v_mfma_f32_16x16x32_fp8_fp8 v[68:71], a[94:95], a[54:55], v[68:71]// 0000000074B4: D3F30044 1D126D5E
	v_mfma_f32_16x16x32_fp8_fp8 v[72:75], a[88:89], a[56:57], v[72:75]// 0000000074BC: D3F30048 1D227158
	buffer_load_dword v52, s[20:23], 0 offen lds               // 0000000074C4: E0511000 80050034
	s_add_u32 m0, 0x300, s49                                   // 0000000074CC: 807C31FF 00000300
	v_mfma_f32_16x16x32_fp8_fp8 v[72:75], a[90:91], a[58:59], v[72:75]// 0000000074D4: D3F30048 1D22755A
	v_mfma_f32_16x16x32_fp8_fp8 v[72:75], a[92:93], a[60:61], v[72:75]// 0000000074DC: D3F30048 1D22795C
	buffer_load_dword v53, s[20:23], 0 offen lds               // 0000000074E4: E0511000 80050035
	s_add_u32 m0, 0x400, s49                                   // 0000000074EC: 807C31FF 00000400
	v_mfma_f32_16x16x32_fp8_fp8 v[72:75], a[94:95], a[62:63], v[72:75]// 0000000074F4: D3F30048 1D227D5E
	v_mfma_f32_16x16x32_fp8_fp8 v[76:79], a[88:89], a[64:65], v[76:79]// 0000000074FC: D3F3004C 1D328158
	buffer_load_dword v54, s[20:23], 0 offen lds               // 000000007504: E0511000 80050036
	s_add_u32 m0, 0x500, s49                                   // 00000000750C: 807C31FF 00000500
	v_mfma_f32_16x16x32_fp8_fp8 v[76:79], a[90:91], a[66:67], v[76:79]// 000000007514: D3F3004C 1D32855A
	v_mfma_f32_16x16x32_fp8_fp8 v[76:79], a[92:93], a[68:69], v[76:79]// 00000000751C: D3F3004C 1D32895C
	buffer_load_dword v55, s[20:23], 0 offen lds               // 000000007524: E0511000 80050037
	s_add_u32 m0, 0x600, s49                                   // 00000000752C: 807C31FF 00000600
	v_mfma_f32_16x16x32_fp8_fp8 v[76:79], a[94:95], a[70:71], v[76:79]// 000000007534: D3F3004C 1D328D5E
	v_mfma_f32_16x16x32_fp8_fp8 v[80:83], a[88:89], a[72:73], v[80:83]// 00000000753C: D3F30050 1D429158
	buffer_load_dword v56, s[20:23], 0 offen lds               // 000000007544: E0511000 80050038
	s_add_u32 m0, 0x700, s49                                   // 00000000754C: 807C31FF 00000700
	v_mfma_f32_16x16x32_fp8_fp8 v[80:83], a[90:91], a[74:75], v[80:83]// 000000007554: D3F30050 1D42955A
	v_mfma_f32_16x16x32_fp8_fp8 v[80:83], a[92:93], a[76:77], v[80:83]// 00000000755C: D3F30050 1D42995C
	buffer_load_dword v57, s[20:23], 0 offen lds               // 000000007564: E0511000 80050039
	s_add_u32 m0, 0x800, s49                                   // 00000000756C: 807C31FF 00000800
	v_mfma_f32_16x16x32_fp8_fp8 v[80:83], a[94:95], a[78:79], v[80:83]// 000000007574: D3F30050 1D429D5E
	buffer_load_dword v58, s[20:23], 0 offen lds               // 00000000757C: E0511000 8005003A
	s_add_u32 m0, 0x900, s49                                   // 000000007584: 807C31FF 00000900
	buffer_load_dword v59, s[20:23], 0 offen lds               // 00000000758C: E0511000 8005003B
	s_add_u32 m0, 0, s50                                       // 000000007594: 807C3280
	s_waitcnt vmcnt(12)                                        // 000000007598: BF8C0F7C
	s_barrier                                                  // 00000000759C: BF8A0000
	v_mfma_f32_16x16x32_fp8_fp8 v[84:87], a[96:97], a[40:41], v[84:87]// 0000000075A0: D3F30054 1D525160
	buffer_load_dwordx4 a[88:91], v60, s[84:87], 0 offen       // 0000000075A8: E05C1000 8095583C
	v_mfma_f32_16x16x32_fp8_fp8 v[84:87], a[98:99], a[42:43], v[84:87]// 0000000075B0: D3F30054 1D525562
	v_mfma_f32_16x16x32_fp8_fp8 v[84:87], a[100:101], a[44:45], v[84:87]// 0000000075B8: D3F30054 1D525964
	ds_read_b128 a[0:3], v2                                    // 0000000075C0: DBFE0000 00000002
	ds_read_b128 a[4:7], v2 offset:64                          // 0000000075C8: DBFE0040 04000002
	v_mfma_f32_16x16x32_fp8_fp8 v[84:87], a[102:103], a[46:47], v[84:87]// 0000000075D0: D3F30054 1D525D66
	v_mfma_f32_16x16x32_fp8_fp8 v[88:91], a[96:97], a[48:49], v[88:91]// 0000000075D8: D3F30058 1D626160
	buffer_load_dwordx4 a[92:95], v60, s[84:87], 0 offen offset:1024// 0000000075E0: E05C1400 80955C3C
	v_mfma_f32_16x16x32_fp8_fp8 v[88:91], a[98:99], a[50:51], v[88:91]// 0000000075E8: D3F30058 1D626562
	v_mfma_f32_16x16x32_fp8_fp8 v[88:91], a[100:101], a[52:53], v[88:91]// 0000000075F0: D3F30058 1D626964
	ds_read_b128 a[8:11], v2 offset:512                        // 0000000075F8: DBFE0200 08000002
	ds_read_b128 a[12:15], v2 offset:576                       // 000000007600: DBFE0240 0C000002
	v_mfma_f32_16x16x32_fp8_fp8 v[88:91], a[102:103], a[54:55], v[88:91]// 000000007608: D3F30058 1D626D66
	v_mfma_f32_16x16x32_fp8_fp8 v[92:95], a[96:97], a[56:57], v[92:95]// 000000007610: D3F3005C 1D727160
	v_mfma_f32_16x16x32_fp8_fp8 v[92:95], a[98:99], a[58:59], v[92:95]// 000000007618: D3F3005C 1D727562
	v_mfma_f32_16x16x32_fp8_fp8 v[92:95], a[100:101], a[60:61], v[92:95]// 000000007620: D3F3005C 1D727964
	ds_read_b128 a[16:19], v2 offset:1024                      // 000000007628: DBFE0400 10000002
	ds_read_b128 a[20:23], v2 offset:1088                      // 000000007630: DBFE0440 14000002
	v_mfma_f32_16x16x32_fp8_fp8 v[92:95], a[102:103], a[62:63], v[92:95]// 000000007638: D3F3005C 1D727D66
	v_mfma_f32_16x16x32_fp8_fp8 v[96:99], a[96:97], a[64:65], v[96:99]// 000000007640: D3F30060 1D828160
	s_add_u32 s60, 0x180, s80                                  // 000000007648: 803C50FF 00000180
	s_cmp_lt_u32 s60, s81                                      // 000000007650: BF0A513C
	s_cselect_b32 s57, s57, 0                                  // 000000007654: 85398039
	v_mfma_f32_16x16x32_fp8_fp8 v[96:99], a[98:99], a[66:67], v[96:99]// 000000007658: D3F30060 1D828562
	s_add_u32 s60, 0x100, s80                                  // 000000007660: 803C50FF 00000100
	s_cmp_lt_u32 s60, s81                                      // 000000007668: BF0A513C
	s_cselect_b32 s58, s58, 0                                  // 00000000766C: 853A803A
	v_mfma_f32_16x16x32_fp8_fp8 v[96:99], a[100:101], a[68:69], v[96:99]// 000000007670: D3F30060 1D828964
	ds_read_b128 a[24:27], v2 offset:1536                      // 000000007678: DBFE0600 18000002
	ds_read_b128 a[28:31], v2 offset:1600                      // 000000007680: DBFE0640 1C000002
	s_add_u32 s60, 0x100, s80                                  // 000000007688: 803C50FF 00000100
	s_cmp_lt_u32 s60, s81                                      // 000000007690: BF0A513C
	s_cselect_b32 s83, s83, 0                                  // 000000007694: 85538053
	v_mfma_f32_16x16x32_fp8_fp8 v[96:99], a[102:103], a[70:71], v[96:99]// 000000007698: D3F30060 1D828D66
	s_add_u32 s24, s58, s24                                    // 0000000076A0: 8018183A
	s_addc_u32 s25, 0, s25                                     // 0000000076A4: 82191980
	v_mfma_f32_16x16x32_fp8_fp8 v[100:103], a[96:97], a[72:73], v[100:103]// 0000000076A8: D3F30064 1D929160
	s_add_u32 s20, s57, s20                                    // 0000000076B0: 80141439
	s_addc_u32 s21, 0, s21                                     // 0000000076B4: 82151580
	v_mfma_f32_16x16x32_fp8_fp8 v[100:103], a[98:99], a[74:75], v[100:103]// 0000000076B8: D3F30064 1D929562
	s_add_u32 s84, s83, s84                                    // 0000000076C0: 80545453
	s_addc_u32 s85, 0, s85                                     // 0000000076C4: 82555580
	v_mfma_f32_16x16x32_fp8_fp8 v[100:103], a[100:101], a[76:77], v[100:103]// 0000000076C8: D3F30064 1D929964
	ds_read_b128 a[32:35], v2 offset:2048                      // 0000000076D0: DBFE0800 20000002
	ds_read_b128 a[36:39], v2 offset:2112                      // 0000000076D8: DBFE0840 24000002
	v_mfma_f32_16x16x32_fp8_fp8 v[100:103], a[102:103], a[78:79], v[100:103]// 0000000076E0: D3F30064 1D929D66
	s_addk_i32 s80, 0x80                                       // 0000000076E8: B7500080
	s_cmp_lt_i32 s80, s81                                      // 0000000076EC: BF045150
	s_cbranch_scc0 label_1341                                  // 0000000076F0: BF840001
	s_branch label_0F3E                                        // 0000000076F4: BF82FBFD

00000000000076f8 <label_1341>:
	v_mul_f32_dpp v64, v24, v64 row_newbcast:0 row_mask:0xf bank_mask:0xf// 0000000076F8: 0A8080FA FF015018
	v_mul_f32_dpp v65, v24, v65 row_newbcast:1 row_mask:0xf bank_mask:0xf// 000000007700: 0A8282FA FF015118
	v_mul_f32_dpp v66, v24, v66 row_newbcast:2 row_mask:0xf bank_mask:0xf// 000000007708: 0A8484FA FF015218
	v_mul_f32_dpp v67, v24, v67 row_newbcast:3 row_mask:0xf bank_mask:0xf// 000000007710: 0A8686FA FF015318
	v_mul_f32_dpp v68, v24, v68 row_newbcast:0 row_mask:0xf bank_mask:0xf// 000000007718: 0A8888FA FF015018
	v_mul_f32_dpp v69, v24, v69 row_newbcast:1 row_mask:0xf bank_mask:0xf// 000000007720: 0A8A8AFA FF015118
	v_mul_f32_dpp v70, v24, v70 row_newbcast:2 row_mask:0xf bank_mask:0xf// 000000007728: 0A8C8CFA FF015218
	v_mul_f32_dpp v71, v24, v71 row_newbcast:3 row_mask:0xf bank_mask:0xf// 000000007730: 0A8E8EFA FF015318
	v_mul_f32_dpp v72, v24, v72 row_newbcast:0 row_mask:0xf bank_mask:0xf// 000000007738: 0A9090FA FF015018
	v_mul_f32_dpp v73, v24, v73 row_newbcast:1 row_mask:0xf bank_mask:0xf// 000000007740: 0A9292FA FF015118
	v_mul_f32_dpp v74, v24, v74 row_newbcast:2 row_mask:0xf bank_mask:0xf// 000000007748: 0A9494FA FF015218
	v_mul_f32_dpp v75, v24, v75 row_newbcast:3 row_mask:0xf bank_mask:0xf// 000000007750: 0A9696FA FF015318
	v_mul_f32_dpp v76, v24, v76 row_newbcast:0 row_mask:0xf bank_mask:0xf// 000000007758: 0A9898FA FF015018
	v_mul_f32_dpp v77, v24, v77 row_newbcast:1 row_mask:0xf bank_mask:0xf// 000000007760: 0A9A9AFA FF015118
	v_mul_f32_dpp v78, v24, v78 row_newbcast:2 row_mask:0xf bank_mask:0xf// 000000007768: 0A9C9CFA FF015218
	v_mul_f32_dpp v79, v24, v79 row_newbcast:3 row_mask:0xf bank_mask:0xf// 000000007770: 0A9E9EFA FF015318
	v_mul_f32_dpp v80, v24, v80 row_newbcast:0 row_mask:0xf bank_mask:0xf// 000000007778: 0AA0A0FA FF015018
	v_mul_f32_dpp v81, v24, v81 row_newbcast:1 row_mask:0xf bank_mask:0xf// 000000007780: 0AA2A2FA FF015118
	v_mul_f32_dpp v82, v24, v82 row_newbcast:2 row_mask:0xf bank_mask:0xf// 000000007788: 0AA4A4FA FF015218
	v_mul_f32_dpp v83, v24, v83 row_newbcast:3 row_mask:0xf bank_mask:0xf// 000000007790: 0AA6A6FA FF015318
	v_mul_f32_dpp v84, v27, v84 row_newbcast:0 row_mask:0xf bank_mask:0xf// 000000007798: 0AA8A8FA FF01501B
	v_mul_f32_dpp v85, v27, v85 row_newbcast:1 row_mask:0xf bank_mask:0xf// 0000000077A0: 0AAAAAFA FF01511B
	v_mul_f32_dpp v86, v27, v86 row_newbcast:2 row_mask:0xf bank_mask:0xf// 0000000077A8: 0AACACFA FF01521B
	v_mul_f32_dpp v87, v27, v87 row_newbcast:3 row_mask:0xf bank_mask:0xf// 0000000077B0: 0AAEAEFA FF01531B
	v_mul_f32_dpp v88, v27, v88 row_newbcast:0 row_mask:0xf bank_mask:0xf// 0000000077B8: 0AB0B0FA FF01501B
	v_mul_f32_dpp v89, v27, v89 row_newbcast:1 row_mask:0xf bank_mask:0xf// 0000000077C0: 0AB2B2FA FF01511B
	v_mul_f32_dpp v90, v27, v90 row_newbcast:2 row_mask:0xf bank_mask:0xf// 0000000077C8: 0AB4B4FA FF01521B
	v_mul_f32_dpp v91, v27, v91 row_newbcast:3 row_mask:0xf bank_mask:0xf// 0000000077D0: 0AB6B6FA FF01531B
	v_mul_f32_dpp v92, v27, v92 row_newbcast:0 row_mask:0xf bank_mask:0xf// 0000000077D8: 0AB8B8FA FF01501B
	v_mul_f32_dpp v93, v27, v93 row_newbcast:1 row_mask:0xf bank_mask:0xf// 0000000077E0: 0ABABAFA FF01511B
	v_mul_f32_dpp v94, v27, v94 row_newbcast:2 row_mask:0xf bank_mask:0xf// 0000000077E8: 0ABCBCFA FF01521B
	v_mul_f32_dpp v95, v27, v95 row_newbcast:3 row_mask:0xf bank_mask:0xf// 0000000077F0: 0ABEBEFA FF01531B
	v_mul_f32_dpp v96, v27, v96 row_newbcast:0 row_mask:0xf bank_mask:0xf// 0000000077F8: 0AC0C0FA FF01501B
	v_mul_f32_dpp v97, v27, v97 row_newbcast:1 row_mask:0xf bank_mask:0xf// 000000007800: 0AC2C2FA FF01511B
	v_mul_f32_dpp v98, v27, v98 row_newbcast:2 row_mask:0xf bank_mask:0xf// 000000007808: 0AC4C4FA FF01521B
	v_mul_f32_dpp v99, v27, v99 row_newbcast:3 row_mask:0xf bank_mask:0xf// 000000007810: 0AC6C6FA FF01531B
	v_mul_f32_dpp v100, v27, v100 row_newbcast:0 row_mask:0xf bank_mask:0xf// 000000007818: 0AC8C8FA FF01501B
	v_mul_f32_dpp v101, v27, v101 row_newbcast:1 row_mask:0xf bank_mask:0xf// 000000007820: 0ACACAFA FF01511B
	v_mul_f32_dpp v102, v27, v102 row_newbcast:2 row_mask:0xf bank_mask:0xf// 000000007828: 0ACCCCFA FF01521B
	v_mul_f32_dpp v103, v27, v103 row_newbcast:3 row_mask:0xf bank_mask:0xf// 000000007830: 0ACECEFA FF01531B
	v_mul_f32_e32 v35, v35, v104                               // 000000007838: 0A46D123
	v_mov_b32_e32 v4, v35                                      // 00000000783C: 7E080323
	v_mov_b32_e32 v5, v4                                       // 000000007840: 7E0A0304
	v_pk_mul_f32 v[64:65], v[4:5], v[64:65]                    // 000000007844: D3B14040 18028104
	v_pk_mul_f32 v[84:85], v[4:5], v[84:85]                    // 00000000784C: D3B14054 1802A904
	v_pk_mul_f32 v[66:67], v[4:5], v[66:67]                    // 000000007854: D3B14042 18028504
	v_pk_mul_f32 v[86:87], v[4:5], v[86:87]                    // 00000000785C: D3B14056 1802AD04
	v_mul_f32_e32 v36, v36, v105                               // 000000007864: 0A48D324
	v_mov_b32_e32 v4, v36                                      // 000000007868: 7E080324
	v_mov_b32_e32 v5, v4                                       // 00000000786C: 7E0A0304
	v_pk_mul_f32 v[68:69], v[4:5], v[68:69]                    // 000000007870: D3B14044 18028904
	v_pk_mul_f32 v[88:89], v[4:5], v[88:89]                    // 000000007878: D3B14058 1802B104
	v_pk_mul_f32 v[70:71], v[4:5], v[70:71]                    // 000000007880: D3B14046 18028D04
	v_pk_mul_f32 v[90:91], v[4:5], v[90:91]                    // 000000007888: D3B1405A 1802B504
	v_mul_f32_e32 v37, v37, v106                               // 000000007890: 0A4AD525
	v_mov_b32_e32 v4, v37                                      // 000000007894: 7E080325
	v_mov_b32_e32 v5, v4                                       // 000000007898: 7E0A0304
	v_pk_mul_f32 v[72:73], v[4:5], v[72:73]                    // 00000000789C: D3B14048 18029104
	v_pk_mul_f32 v[92:93], v[4:5], v[92:93]                    // 0000000078A4: D3B1405C 1802B904
	v_pk_mul_f32 v[74:75], v[4:5], v[74:75]                    // 0000000078AC: D3B1404A 18029504
	v_pk_mul_f32 v[94:95], v[4:5], v[94:95]                    // 0000000078B4: D3B1405E 1802BD04
	v_mul_f32_e32 v38, v38, v107                               // 0000000078BC: 0A4CD726
	v_mov_b32_e32 v4, v38                                      // 0000000078C0: 7E080326
	v_mov_b32_e32 v5, v4                                       // 0000000078C4: 7E0A0304
	v_pk_mul_f32 v[76:77], v[4:5], v[76:77]                    // 0000000078C8: D3B1404C 18029904
	v_pk_mul_f32 v[96:97], v[4:5], v[96:97]                    // 0000000078D0: D3B14060 1802C104
	v_pk_mul_f32 v[78:79], v[4:5], v[78:79]                    // 0000000078D8: D3B1404E 18029D04
	v_pk_mul_f32 v[98:99], v[4:5], v[98:99]                    // 0000000078E0: D3B14062 1802C504
	v_mul_f32_e32 v39, v39, v108                               // 0000000078E8: 0A4ED927
	v_mov_b32_e32 v4, v39                                      // 0000000078EC: 7E080327
	v_mov_b32_e32 v5, v4                                       // 0000000078F0: 7E0A0304
	v_pk_mul_f32 v[80:81], v[4:5], v[80:81]                    // 0000000078F4: D3B14050 1802A104
	v_pk_mul_f32 v[100:101], v[4:5], v[100:101]                // 0000000078FC: D3B14064 1802C904
	v_pk_mul_f32 v[82:83], v[4:5], v[82:83]                    // 000000007904: D3B14052 1802A504
	v_pk_mul_f32 v[102:103], v[4:5], v[102:103]                // 00000000790C: D3B14066 1802CD04
	s_cmp_eq_u32 s88, 0                                        // 000000007914: BF068058
	s_cbranch_scc0 label_178D                                  // 000000007918: BF8403C3
	s_cmp_eq_u32 s89, 0                                        // 00000000791C: BF068059
	s_cbranch_scc1 label_1499                                  // 000000007920: BF8500CD
	v_mov_b32_e32 v8, v1                                       // 000000007924: 7E100301
	v_mov_b32_e32 v9, v1                                       // 000000007928: 7E120301
	s_mov_b32 s60, s6                                          // 00000000792C: BEBC0006
	s_mov_b32 s61, s6                                          // 000000007930: BEBD0006
	v_pk_mul_f32 v[4:5], v[64:65], v[64:65]                    // 000000007934: D3B14004 18028140
	v_pk_mul_f32 v[6:7], v[66:67], v[66:67]                    // 00000000793C: D3B14006 18028542
	v_pk_fma_f32 v[4:5], v[4:5], s[78:79], v[8:9]              // 000000007944: D3B04004 1C209D04
	v_pk_fma_f32 v[6:7], v[6:7], s[78:79], v[8:9]              // 00000000794C: D3B04006 1C209D06
	v_pk_mul_f32 v[4:5], v[4:5], v[64:65]                      // 000000007954: D3B14004 18028104
	v_pk_mul_f32 v[6:7], v[6:7], v[66:67]                      // 00000000795C: D3B14006 18028506
	v_pk_mul_f32 v[4:5], v[4:5], s[60:61]                      // 000000007964: D3B14004 18007904
	v_pk_mul_f32 v[6:7], v[6:7], s[60:61]                      // 00000000796C: D3B14006 18007906
	v_exp_f32_e32 v4, v4                                       // 000000007974: 7E084104
	v_exp_f32_e32 v5, v5                                       // 000000007978: 7E0A4105
	v_exp_f32_e32 v6, v6                                       // 00000000797C: 7E0C4106
	v_exp_f32_e32 v7, v7                                       // 000000007980: 7E0E4107
	v_add_f32_e64 v4, v4, 1.0                                  // 000000007984: D1010004 0001E504
	v_add_f32_e64 v5, v5, 1.0                                  // 00000000798C: D1010005 0001E505
	v_add_f32_e64 v6, v6, 1.0                                  // 000000007994: D1010006 0001E506
	v_add_f32_e64 v7, v7, 1.0                                  // 00000000799C: D1010007 0001E507
	v_rcp_f32_e32 v4, v4                                       // 0000000079A4: 7E084504
	v_rcp_f32_e32 v5, v5                                       // 0000000079A8: 7E0A4505
	v_rcp_f32_e32 v6, v6                                       // 0000000079AC: 7E0C4506
	v_rcp_f32_e32 v7, v7                                       // 0000000079B0: 7E0E4507
	v_mul_f32_e32 v64, v64, v4                                 // 0000000079B4: 0A800940
	v_mul_f32_e32 v65, v65, v5                                 // 0000000079B8: 0A820B41
	v_mul_f32_e32 v66, v66, v6                                 // 0000000079BC: 0A840D42
	v_mul_f32_e32 v67, v67, v7                                 // 0000000079C0: 0A860F43
	v_mul_f32_e32 v64, v64, v84                                // 0000000079C4: 0A80A940
	v_mul_f32_e32 v65, v65, v85                                // 0000000079C8: 0A82AB41
	v_mul_f32_e32 v66, v66, v86                                // 0000000079CC: 0A84AD42
	v_mul_f32_e32 v67, v67, v87                                // 0000000079D0: 0A86AF43
	v_pk_mul_f32 v[4:5], v[68:69], v[68:69]                    // 0000000079D4: D3B14004 18028944
	v_pk_mul_f32 v[6:7], v[70:71], v[70:71]                    // 0000000079DC: D3B14006 18028D46
	v_pk_fma_f32 v[4:5], v[4:5], s[78:79], v[8:9]              // 0000000079E4: D3B04004 1C209D04
	v_pk_fma_f32 v[6:7], v[6:7], s[78:79], v[8:9]              // 0000000079EC: D3B04006 1C209D06
	v_pk_mul_f32 v[4:5], v[4:5], v[68:69]                      // 0000000079F4: D3B14004 18028904
	v_pk_mul_f32 v[6:7], v[6:7], v[70:71]                      // 0000000079FC: D3B14006 18028D06
	v_pk_mul_f32 v[4:5], v[4:5], s[60:61]                      // 000000007A04: D3B14004 18007904
	v_pk_mul_f32 v[6:7], v[6:7], s[60:61]                      // 000000007A0C: D3B14006 18007906
	v_exp_f32_e32 v4, v4                                       // 000000007A14: 7E084104
	v_exp_f32_e32 v5, v5                                       // 000000007A18: 7E0A4105
	v_exp_f32_e32 v6, v6                                       // 000000007A1C: 7E0C4106
	v_exp_f32_e32 v7, v7                                       // 000000007A20: 7E0E4107
	v_add_f32_e64 v4, v4, 1.0                                  // 000000007A24: D1010004 0001E504
	v_add_f32_e64 v5, v5, 1.0                                  // 000000007A2C: D1010005 0001E505
	v_add_f32_e64 v6, v6, 1.0                                  // 000000007A34: D1010006 0001E506
	v_add_f32_e64 v7, v7, 1.0                                  // 000000007A3C: D1010007 0001E507
	v_rcp_f32_e32 v4, v4                                       // 000000007A44: 7E084504
	v_rcp_f32_e32 v5, v5                                       // 000000007A48: 7E0A4505
	v_rcp_f32_e32 v6, v6                                       // 000000007A4C: 7E0C4506
	v_rcp_f32_e32 v7, v7                                       // 000000007A50: 7E0E4507
	v_mul_f32_e32 v68, v68, v4                                 // 000000007A54: 0A880944
	v_mul_f32_e32 v69, v69, v5                                 // 000000007A58: 0A8A0B45
	v_mul_f32_e32 v70, v70, v6                                 // 000000007A5C: 0A8C0D46
	v_mul_f32_e32 v71, v71, v7                                 // 000000007A60: 0A8E0F47
	v_mul_f32_e32 v68, v68, v88                                // 000000007A64: 0A88B144
	v_mul_f32_e32 v69, v69, v89                                // 000000007A68: 0A8AB345
	v_mul_f32_e32 v70, v70, v90                                // 000000007A6C: 0A8CB546
	v_mul_f32_e32 v71, v71, v91                                // 000000007A70: 0A8EB747
	v_pk_mul_f32 v[4:5], v[72:73], v[72:73]                    // 000000007A74: D3B14004 18029148
	v_pk_mul_f32 v[6:7], v[74:75], v[74:75]                    // 000000007A7C: D3B14006 1802954A
	v_pk_fma_f32 v[4:5], v[4:5], s[78:79], v[8:9]              // 000000007A84: D3B04004 1C209D04
	v_pk_fma_f32 v[6:7], v[6:7], s[78:79], v[8:9]              // 000000007A8C: D3B04006 1C209D06
	v_pk_mul_f32 v[4:5], v[4:5], v[72:73]                      // 000000007A94: D3B14004 18029104
	v_pk_mul_f32 v[6:7], v[6:7], v[74:75]                      // 000000007A9C: D3B14006 18029506
	v_pk_mul_f32 v[4:5], v[4:5], s[60:61]                      // 000000007AA4: D3B14004 18007904
	v_pk_mul_f32 v[6:7], v[6:7], s[60:61]                      // 000000007AAC: D3B14006 18007906
	v_exp_f32_e32 v4, v4                                       // 000000007AB4: 7E084104
	v_exp_f32_e32 v5, v5                                       // 000000007AB8: 7E0A4105
	v_exp_f32_e32 v6, v6                                       // 000000007ABC: 7E0C4106
	v_exp_f32_e32 v7, v7                                       // 000000007AC0: 7E0E4107
	v_add_f32_e64 v4, v4, 1.0                                  // 000000007AC4: D1010004 0001E504
	v_add_f32_e64 v5, v5, 1.0                                  // 000000007ACC: D1010005 0001E505
	v_add_f32_e64 v6, v6, 1.0                                  // 000000007AD4: D1010006 0001E506
	v_add_f32_e64 v7, v7, 1.0                                  // 000000007ADC: D1010007 0001E507
	v_rcp_f32_e32 v4, v4                                       // 000000007AE4: 7E084504
	v_rcp_f32_e32 v5, v5                                       // 000000007AE8: 7E0A4505
	v_rcp_f32_e32 v6, v6                                       // 000000007AEC: 7E0C4506
	v_rcp_f32_e32 v7, v7                                       // 000000007AF0: 7E0E4507
	v_mul_f32_e32 v72, v72, v4                                 // 000000007AF4: 0A900948
	v_mul_f32_e32 v73, v73, v5                                 // 000000007AF8: 0A920B49
	v_mul_f32_e32 v74, v74, v6                                 // 000000007AFC: 0A940D4A
	v_mul_f32_e32 v75, v75, v7                                 // 000000007B00: 0A960F4B
	v_mul_f32_e32 v72, v72, v92                                // 000000007B04: 0A90B948
	v_mul_f32_e32 v73, v73, v93                                // 000000007B08: 0A92BB49
	v_mul_f32_e32 v74, v74, v94                                // 000000007B0C: 0A94BD4A
	v_mul_f32_e32 v75, v75, v95                                // 000000007B10: 0A96BF4B
	v_pk_mul_f32 v[4:5], v[76:77], v[76:77]                    // 000000007B14: D3B14004 1802994C
	v_pk_mul_f32 v[6:7], v[78:79], v[78:79]                    // 000000007B1C: D3B14006 18029D4E
	v_pk_fma_f32 v[4:5], v[4:5], s[78:79], v[8:9]              // 000000007B24: D3B04004 1C209D04
	v_pk_fma_f32 v[6:7], v[6:7], s[78:79], v[8:9]              // 000000007B2C: D3B04006 1C209D06
	v_pk_mul_f32 v[4:5], v[4:5], v[76:77]                      // 000000007B34: D3B14004 18029904
	v_pk_mul_f32 v[6:7], v[6:7], v[78:79]                      // 000000007B3C: D3B14006 18029D06
	v_pk_mul_f32 v[4:5], v[4:5], s[60:61]                      // 000000007B44: D3B14004 18007904
	v_pk_mul_f32 v[6:7], v[6:7], s[60:61]                      // 000000007B4C: D3B14006 18007906
	v_exp_f32_e32 v4, v4                                       // 000000007B54: 7E084104
	v_exp_f32_e32 v5, v5                                       // 000000007B58: 7E0A4105
	v_exp_f32_e32 v6, v6                                       // 000000007B5C: 7E0C4106
	v_exp_f32_e32 v7, v7                                       // 000000007B60: 7E0E4107
	v_add_f32_e64 v4, v4, 1.0                                  // 000000007B64: D1010004 0001E504
	v_add_f32_e64 v5, v5, 1.0                                  // 000000007B6C: D1010005 0001E505
	v_add_f32_e64 v6, v6, 1.0                                  // 000000007B74: D1010006 0001E506
	v_add_f32_e64 v7, v7, 1.0                                  // 000000007B7C: D1010007 0001E507
	v_rcp_f32_e32 v4, v4                                       // 000000007B84: 7E084504
	v_rcp_f32_e32 v5, v5                                       // 000000007B88: 7E0A4505
	v_rcp_f32_e32 v6, v6                                       // 000000007B8C: 7E0C4506
	v_rcp_f32_e32 v7, v7                                       // 000000007B90: 7E0E4507
	v_mul_f32_e32 v76, v76, v4                                 // 000000007B94: 0A98094C
	v_mul_f32_e32 v77, v77, v5                                 // 000000007B98: 0A9A0B4D
	v_mul_f32_e32 v78, v78, v6                                 // 000000007B9C: 0A9C0D4E
	v_mul_f32_e32 v79, v79, v7                                 // 000000007BA0: 0A9E0F4F
	v_mul_f32_e32 v76, v76, v96                                // 000000007BA4: 0A98C14C
	v_mul_f32_e32 v77, v77, v97                                // 000000007BA8: 0A9AC34D
	v_mul_f32_e32 v78, v78, v98                                // 000000007BAC: 0A9CC54E
	v_mul_f32_e32 v79, v79, v99                                // 000000007BB0: 0A9EC74F
	v_pk_mul_f32 v[4:5], v[80:81], v[80:81]                    // 000000007BB4: D3B14004 1802A150
	v_pk_mul_f32 v[6:7], v[82:83], v[82:83]                    // 000000007BBC: D3B14006 1802A552
	v_pk_fma_f32 v[4:5], v[4:5], s[78:79], v[8:9]              // 000000007BC4: D3B04004 1C209D04
	v_pk_fma_f32 v[6:7], v[6:7], s[78:79], v[8:9]              // 000000007BCC: D3B04006 1C209D06
	v_pk_mul_f32 v[4:5], v[4:5], v[80:81]                      // 000000007BD4: D3B14004 1802A104
	v_pk_mul_f32 v[6:7], v[6:7], v[82:83]                      // 000000007BDC: D3B14006 1802A506
	v_pk_mul_f32 v[4:5], v[4:5], s[60:61]                      // 000000007BE4: D3B14004 18007904
	v_pk_mul_f32 v[6:7], v[6:7], s[60:61]                      // 000000007BEC: D3B14006 18007906
	v_exp_f32_e32 v4, v4                                       // 000000007BF4: 7E084104
	v_exp_f32_e32 v5, v5                                       // 000000007BF8: 7E0A4105
	v_exp_f32_e32 v6, v6                                       // 000000007BFC: 7E0C4106
	v_exp_f32_e32 v7, v7                                       // 000000007C00: 7E0E4107
	v_add_f32_e64 v4, v4, 1.0                                  // 000000007C04: D1010004 0001E504
	v_add_f32_e64 v5, v5, 1.0                                  // 000000007C0C: D1010005 0001E505
	v_add_f32_e64 v6, v6, 1.0                                  // 000000007C14: D1010006 0001E506
	v_add_f32_e64 v7, v7, 1.0                                  // 000000007C1C: D1010007 0001E507
	v_rcp_f32_e32 v4, v4                                       // 000000007C24: 7E084504
	v_rcp_f32_e32 v5, v5                                       // 000000007C28: 7E0A4505
	v_rcp_f32_e32 v6, v6                                       // 000000007C2C: 7E0C4506
	v_rcp_f32_e32 v7, v7                                       // 000000007C30: 7E0E4507
	v_mul_f32_e32 v80, v80, v4                                 // 000000007C34: 0AA00950
	v_mul_f32_e32 v81, v81, v5                                 // 000000007C38: 0AA20B51
	v_mul_f32_e32 v82, v82, v6                                 // 000000007C3C: 0AA40D52
	v_mul_f32_e32 v83, v83, v7                                 // 000000007C40: 0AA60F53
	v_mul_f32_e32 v80, v80, v100                               // 000000007C44: 0AA0C950
	v_mul_f32_e32 v81, v81, v101                               // 000000007C48: 0AA2CB51
	v_mul_f32_e32 v82, v82, v102                               // 000000007C4C: 0AA4CD52
	v_mul_f32_e32 v83, v83, v103                               // 000000007C50: 0AA6CF53
	s_branch label_1539                                        // 000000007C54: BF8200A0

0000000000007c58 <label_1499>:
	v_mul_f32_e64 v4, -v64, s6                                 // 000000007C58: D1050004 20000D40
	v_mul_f32_e64 v5, -v65, s6                                 // 000000007C60: D1050005 20000D41
	v_mul_f32_e64 v6, -v66, s6                                 // 000000007C68: D1050006 20000D42
	v_mul_f32_e64 v7, -v67, s6                                 // 000000007C70: D1050007 20000D43
	v_exp_f32_e32 v4, v4                                       // 000000007C78: 7E084104
	v_exp_f32_e32 v5, v5                                       // 000000007C7C: 7E0A4105
	v_exp_f32_e32 v6, v6                                       // 000000007C80: 7E0C4106
	v_exp_f32_e32 v7, v7                                       // 000000007C84: 7E0E4107
	v_add_f32_e64 v4, v4, 1.0                                  // 000000007C88: D1010004 0001E504
	v_add_f32_e64 v5, v5, 1.0                                  // 000000007C90: D1010005 0001E505
	v_add_f32_e64 v6, v6, 1.0                                  // 000000007C98: D1010006 0001E506
	v_add_f32_e64 v7, v7, 1.0                                  // 000000007CA0: D1010007 0001E507
	v_rcp_f32_e32 v4, v4                                       // 000000007CA8: 7E084504
	v_rcp_f32_e32 v5, v5                                       // 000000007CAC: 7E0A4505
	v_rcp_f32_e32 v6, v6                                       // 000000007CB0: 7E0C4506
	v_rcp_f32_e32 v7, v7                                       // 000000007CB4: 7E0E4507
	v_mul_f32_e32 v64, v64, v4                                 // 000000007CB8: 0A800940
	v_mul_f32_e32 v65, v65, v5                                 // 000000007CBC: 0A820B41
	v_mul_f32_e32 v66, v66, v6                                 // 000000007CC0: 0A840D42
	v_mul_f32_e32 v67, v67, v7                                 // 000000007CC4: 0A860F43
	v_mul_f32_e32 v64, v64, v84                                // 000000007CC8: 0A80A940
	v_mul_f32_e32 v65, v65, v85                                // 000000007CCC: 0A82AB41
	v_mul_f32_e32 v66, v66, v86                                // 000000007CD0: 0A84AD42
	v_mul_f32_e32 v67, v67, v87                                // 000000007CD4: 0A86AF43
	v_mul_f32_e64 v4, -v68, s6                                 // 000000007CD8: D1050004 20000D44
	v_mul_f32_e64 v5, -v69, s6                                 // 000000007CE0: D1050005 20000D45
	v_mul_f32_e64 v6, -v70, s6                                 // 000000007CE8: D1050006 20000D46
	v_mul_f32_e64 v7, -v71, s6                                 // 000000007CF0: D1050007 20000D47
	v_exp_f32_e32 v4, v4                                       // 000000007CF8: 7E084104
	v_exp_f32_e32 v5, v5                                       // 000000007CFC: 7E0A4105
	v_exp_f32_e32 v6, v6                                       // 000000007D00: 7E0C4106
	v_exp_f32_e32 v7, v7                                       // 000000007D04: 7E0E4107
	v_add_f32_e64 v4, v4, 1.0                                  // 000000007D08: D1010004 0001E504
	v_add_f32_e64 v5, v5, 1.0                                  // 000000007D10: D1010005 0001E505
	v_add_f32_e64 v6, v6, 1.0                                  // 000000007D18: D1010006 0001E506
	v_add_f32_e64 v7, v7, 1.0                                  // 000000007D20: D1010007 0001E507
	v_rcp_f32_e32 v4, v4                                       // 000000007D28: 7E084504
	v_rcp_f32_e32 v5, v5                                       // 000000007D2C: 7E0A4505
	v_rcp_f32_e32 v6, v6                                       // 000000007D30: 7E0C4506
	v_rcp_f32_e32 v7, v7                                       // 000000007D34: 7E0E4507
	v_mul_f32_e32 v68, v68, v4                                 // 000000007D38: 0A880944
	v_mul_f32_e32 v69, v69, v5                                 // 000000007D3C: 0A8A0B45
	v_mul_f32_e32 v70, v70, v6                                 // 000000007D40: 0A8C0D46
	v_mul_f32_e32 v71, v71, v7                                 // 000000007D44: 0A8E0F47
	v_mul_f32_e32 v68, v68, v88                                // 000000007D48: 0A88B144
	v_mul_f32_e32 v69, v69, v89                                // 000000007D4C: 0A8AB345
	v_mul_f32_e32 v70, v70, v90                                // 000000007D50: 0A8CB546
	v_mul_f32_e32 v71, v71, v91                                // 000000007D54: 0A8EB747
	v_mul_f32_e64 v4, -v72, s6                                 // 000000007D58: D1050004 20000D48
	v_mul_f32_e64 v5, -v73, s6                                 // 000000007D60: D1050005 20000D49
	v_mul_f32_e64 v6, -v74, s6                                 // 000000007D68: D1050006 20000D4A
	v_mul_f32_e64 v7, -v75, s6                                 // 000000007D70: D1050007 20000D4B
	v_exp_f32_e32 v4, v4                                       // 000000007D78: 7E084104
	v_exp_f32_e32 v5, v5                                       // 000000007D7C: 7E0A4105
	v_exp_f32_e32 v6, v6                                       // 000000007D80: 7E0C4106
	v_exp_f32_e32 v7, v7                                       // 000000007D84: 7E0E4107
	v_add_f32_e64 v4, v4, 1.0                                  // 000000007D88: D1010004 0001E504
	v_add_f32_e64 v5, v5, 1.0                                  // 000000007D90: D1010005 0001E505
	v_add_f32_e64 v6, v6, 1.0                                  // 000000007D98: D1010006 0001E506
	v_add_f32_e64 v7, v7, 1.0                                  // 000000007DA0: D1010007 0001E507
	v_rcp_f32_e32 v4, v4                                       // 000000007DA8: 7E084504
	v_rcp_f32_e32 v5, v5                                       // 000000007DAC: 7E0A4505
	v_rcp_f32_e32 v6, v6                                       // 000000007DB0: 7E0C4506
	v_rcp_f32_e32 v7, v7                                       // 000000007DB4: 7E0E4507
	v_mul_f32_e32 v72, v72, v4                                 // 000000007DB8: 0A900948
	v_mul_f32_e32 v73, v73, v5                                 // 000000007DBC: 0A920B49
	v_mul_f32_e32 v74, v74, v6                                 // 000000007DC0: 0A940D4A
	v_mul_f32_e32 v75, v75, v7                                 // 000000007DC4: 0A960F4B
	v_mul_f32_e32 v72, v72, v92                                // 000000007DC8: 0A90B948
	v_mul_f32_e32 v73, v73, v93                                // 000000007DCC: 0A92BB49
	v_mul_f32_e32 v74, v74, v94                                // 000000007DD0: 0A94BD4A
	v_mul_f32_e32 v75, v75, v95                                // 000000007DD4: 0A96BF4B
	v_mul_f32_e64 v4, -v76, s6                                 // 000000007DD8: D1050004 20000D4C
	v_mul_f32_e64 v5, -v77, s6                                 // 000000007DE0: D1050005 20000D4D
	v_mul_f32_e64 v6, -v78, s6                                 // 000000007DE8: D1050006 20000D4E
	v_mul_f32_e64 v7, -v79, s6                                 // 000000007DF0: D1050007 20000D4F
	v_exp_f32_e32 v4, v4                                       // 000000007DF8: 7E084104
	v_exp_f32_e32 v5, v5                                       // 000000007DFC: 7E0A4105
	v_exp_f32_e32 v6, v6                                       // 000000007E00: 7E0C4106
	v_exp_f32_e32 v7, v7                                       // 000000007E04: 7E0E4107
	v_add_f32_e64 v4, v4, 1.0                                  // 000000007E08: D1010004 0001E504
	v_add_f32_e64 v5, v5, 1.0                                  // 000000007E10: D1010005 0001E505
	v_add_f32_e64 v6, v6, 1.0                                  // 000000007E18: D1010006 0001E506
	v_add_f32_e64 v7, v7, 1.0                                  // 000000007E20: D1010007 0001E507
	v_rcp_f32_e32 v4, v4                                       // 000000007E28: 7E084504
	v_rcp_f32_e32 v5, v5                                       // 000000007E2C: 7E0A4505
	v_rcp_f32_e32 v6, v6                                       // 000000007E30: 7E0C4506
	v_rcp_f32_e32 v7, v7                                       // 000000007E34: 7E0E4507
	v_mul_f32_e32 v76, v76, v4                                 // 000000007E38: 0A98094C
	v_mul_f32_e32 v77, v77, v5                                 // 000000007E3C: 0A9A0B4D
	v_mul_f32_e32 v78, v78, v6                                 // 000000007E40: 0A9C0D4E
	v_mul_f32_e32 v79, v79, v7                                 // 000000007E44: 0A9E0F4F
	v_mul_f32_e32 v76, v76, v96                                // 000000007E48: 0A98C14C
	v_mul_f32_e32 v77, v77, v97                                // 000000007E4C: 0A9AC34D
	v_mul_f32_e32 v78, v78, v98                                // 000000007E50: 0A9CC54E
	v_mul_f32_e32 v79, v79, v99                                // 000000007E54: 0A9EC74F
	v_mul_f32_e64 v4, -v80, s6                                 // 000000007E58: D1050004 20000D50
	v_mul_f32_e64 v5, -v81, s6                                 // 000000007E60: D1050005 20000D51
	v_mul_f32_e64 v6, -v82, s6                                 // 000000007E68: D1050006 20000D52
	v_mul_f32_e64 v7, -v83, s6                                 // 000000007E70: D1050007 20000D53
	v_exp_f32_e32 v4, v4                                       // 000000007E78: 7E084104
	v_exp_f32_e32 v5, v5                                       // 000000007E7C: 7E0A4105
	v_exp_f32_e32 v6, v6                                       // 000000007E80: 7E0C4106
	v_exp_f32_e32 v7, v7                                       // 000000007E84: 7E0E4107
	v_add_f32_e64 v4, v4, 1.0                                  // 000000007E88: D1010004 0001E504
	v_add_f32_e64 v5, v5, 1.0                                  // 000000007E90: D1010005 0001E505
	v_add_f32_e64 v6, v6, 1.0                                  // 000000007E98: D1010006 0001E506
	v_add_f32_e64 v7, v7, 1.0                                  // 000000007EA0: D1010007 0001E507
	v_rcp_f32_e32 v4, v4                                       // 000000007EA8: 7E084504
	v_rcp_f32_e32 v5, v5                                       // 000000007EAC: 7E0A4505
	v_rcp_f32_e32 v6, v6                                       // 000000007EB0: 7E0C4506
	v_rcp_f32_e32 v7, v7                                       // 000000007EB4: 7E0E4507
	v_mul_f32_e32 v80, v80, v4                                 // 000000007EB8: 0AA00950
	v_mul_f32_e32 v81, v81, v5                                 // 000000007EBC: 0AA20B51
	v_mul_f32_e32 v82, v82, v6                                 // 000000007EC0: 0AA40D52
	v_mul_f32_e32 v83, v83, v7                                 // 000000007EC4: 0AA60F53
	v_mul_f32_e32 v80, v80, v100                               // 000000007EC8: 0AA0C950
	v_mul_f32_e32 v81, v81, v101                               // 000000007ECC: 0AA2CB51
	v_mul_f32_e32 v82, v82, v102                               // 000000007ED0: 0AA4CD52
	v_mul_f32_e32 v83, v83, v103                               // 000000007ED4: 0AA6CF53

0000000000007ed8 <label_1539>:
	v_cmp_u_f32_e64 s[46:47], v64, v64                         // 000000007ED8: D048002E 00028140
	v_add3_u32 v16, v64, v19, 1                                // 000000007EE0: D1FF0010 02062740
	v_cndmask_b32_e64 v4, v16, v18, s[46:47]                   // 000000007EE8: D1000004 00BA2510
	v_cmp_u_f32_e64 s[46:47], v65, v65                         // 000000007EF0: D048002E 00028341
	v_add3_u32 v16, v65, v19, 1                                // 000000007EF8: D1FF0010 02062741
	v_cndmask_b32_e64 v5, v16, v18, s[46:47]                   // 000000007F00: D1000005 00BA2510
	v_perm_b32 v64, v5, v4, s52                                // 000000007F08: D1ED0040 00D20905
	v_cmp_u_f32_e64 s[46:47], v66, v66                         // 000000007F10: D048002E 00028542
	v_add3_u32 v16, v66, v19, 1                                // 000000007F18: D1FF0010 02062742
	v_cndmask_b32_e64 v4, v16, v18, s[46:47]                   // 000000007F20: D1000004 00BA2510
	v_cmp_u_f32_e64 s[46:47], v67, v67                         // 000000007F28: D048002E 00028743
	v_add3_u32 v16, v67, v19, 1                                // 000000007F30: D1FF0010 02062743
	v_cndmask_b32_e64 v5, v16, v18, s[46:47]                   // 000000007F38: D1000005 00BA2510
	v_perm_b32 v65, v5, v4, s52                                // 000000007F40: D1ED0041 00D20905
	v_cmp_u_f32_e64 s[46:47], v68, v68                         // 000000007F48: D048002E 00028944
	v_add3_u32 v16, v68, v19, 1                                // 000000007F50: D1FF0010 02062744
	v_cndmask_b32_e64 v4, v16, v18, s[46:47]                   // 000000007F58: D1000004 00BA2510
	v_cmp_u_f32_e64 s[46:47], v69, v69                         // 000000007F60: D048002E 00028B45
	v_add3_u32 v16, v69, v19, 1                                // 000000007F68: D1FF0010 02062745
	v_cndmask_b32_e64 v5, v16, v18, s[46:47]                   // 000000007F70: D1000005 00BA2510
	v_perm_b32 v66, v5, v4, s52                                // 000000007F78: D1ED0042 00D20905
	v_cmp_u_f32_e64 s[46:47], v70, v70                         // 000000007F80: D048002E 00028D46
	v_add3_u32 v16, v70, v19, 1                                // 000000007F88: D1FF0010 02062746
	v_cndmask_b32_e64 v4, v16, v18, s[46:47]                   // 000000007F90: D1000004 00BA2510
	v_cmp_u_f32_e64 s[46:47], v71, v71                         // 000000007F98: D048002E 00028F47
	v_add3_u32 v16, v71, v19, 1                                // 000000007FA0: D1FF0010 02062747
	v_cndmask_b32_e64 v5, v16, v18, s[46:47]                   // 000000007FA8: D1000005 00BA2510
	v_perm_b32 v67, v5, v4, s52                                // 000000007FB0: D1ED0043 00D20905
	v_cmp_u_f32_e64 s[46:47], v72, v72                         // 000000007FB8: D048002E 00029148
	v_add3_u32 v16, v72, v19, 1                                // 000000007FC0: D1FF0010 02062748
	v_cndmask_b32_e64 v4, v16, v18, s[46:47]                   // 000000007FC8: D1000004 00BA2510
	v_cmp_u_f32_e64 s[46:47], v73, v73                         // 000000007FD0: D048002E 00029349
	v_add3_u32 v16, v73, v19, 1                                // 000000007FD8: D1FF0010 02062749
	v_cndmask_b32_e64 v5, v16, v18, s[46:47]                   // 000000007FE0: D1000005 00BA2510
	v_perm_b32 v68, v5, v4, s52                                // 000000007FE8: D1ED0044 00D20905
	v_cmp_u_f32_e64 s[46:47], v74, v74                         // 000000007FF0: D048002E 0002954A
	v_add3_u32 v16, v74, v19, 1                                // 000000007FF8: D1FF0010 0206274A
	v_cndmask_b32_e64 v4, v16, v18, s[46:47]                   // 000000008000: D1000004 00BA2510
	v_cmp_u_f32_e64 s[46:47], v75, v75                         // 000000008008: D048002E 0002974B
	v_add3_u32 v16, v75, v19, 1                                // 000000008010: D1FF0010 0206274B
	v_cndmask_b32_e64 v5, v16, v18, s[46:47]                   // 000000008018: D1000005 00BA2510
	v_perm_b32 v69, v5, v4, s52                                // 000000008020: D1ED0045 00D20905
	v_cmp_u_f32_e64 s[46:47], v76, v76                         // 000000008028: D048002E 0002994C
	v_add3_u32 v16, v76, v19, 1                                // 000000008030: D1FF0010 0206274C
	v_cndmask_b32_e64 v4, v16, v18, s[46:47]                   // 000000008038: D1000004 00BA2510
	v_cmp_u_f32_e64 s[46:47], v77, v77                         // 000000008040: D048002E 00029B4D
	v_add3_u32 v16, v77, v19, 1                                // 000000008048: D1FF0010 0206274D
	v_cndmask_b32_e64 v5, v16, v18, s[46:47]                   // 000000008050: D1000005 00BA2510
	v_perm_b32 v70, v5, v4, s52                                // 000000008058: D1ED0046 00D20905
	v_cmp_u_f32_e64 s[46:47], v78, v78                         // 000000008060: D048002E 00029D4E
	v_add3_u32 v16, v78, v19, 1                                // 000000008068: D1FF0010 0206274E
	v_cndmask_b32_e64 v4, v16, v18, s[46:47]                   // 000000008070: D1000004 00BA2510
	v_cmp_u_f32_e64 s[46:47], v79, v79                         // 000000008078: D048002E 00029F4F
	v_add3_u32 v16, v79, v19, 1                                // 000000008080: D1FF0010 0206274F
	v_cndmask_b32_e64 v5, v16, v18, s[46:47]                   // 000000008088: D1000005 00BA2510
	v_perm_b32 v71, v5, v4, s52                                // 000000008090: D1ED0047 00D20905
	v_cmp_u_f32_e64 s[46:47], v80, v80                         // 000000008098: D048002E 0002A150
	v_add3_u32 v16, v80, v19, 1                                // 0000000080A0: D1FF0010 02062750
	v_cndmask_b32_e64 v4, v16, v18, s[46:47]                   // 0000000080A8: D1000004 00BA2510
	v_cmp_u_f32_e64 s[46:47], v81, v81                         // 0000000080B0: D048002E 0002A351
	v_add3_u32 v16, v81, v19, 1                                // 0000000080B8: D1FF0010 02062751
	v_cndmask_b32_e64 v5, v16, v18, s[46:47]                   // 0000000080C0: D1000005 00BA2510
	v_perm_b32 v72, v5, v4, s52                                // 0000000080C8: D1ED0048 00D20905
	v_cmp_u_f32_e64 s[46:47], v82, v82                         // 0000000080D0: D048002E 0002A552
	v_add3_u32 v16, v82, v19, 1                                // 0000000080D8: D1FF0010 02062752
	v_cndmask_b32_e64 v4, v16, v18, s[46:47]                   // 0000000080E0: D1000004 00BA2510
	v_cmp_u_f32_e64 s[46:47], v83, v83                         // 0000000080E8: D048002E 0002A753
	v_add3_u32 v16, v83, v19, 1                                // 0000000080F0: D1FF0010 02062753
	v_cndmask_b32_e64 v5, v16, v18, s[46:47]                   // 0000000080F8: D1000005 00BA2510
	v_perm_b32 v73, v5, v4, s52                                // 000000008100: D1ED0049 00D20905
	ds_write_b64 v20, v[64:65]                                 // 000000008108: D89A0000 00004014
	ds_write_b64 v20, v[66:67] offset:2176                     // 000000008110: D89A0880 00004214
	ds_write_b64 v20, v[68:69] offset:4352                     // 000000008118: D89A1100 00004414
	ds_write_b64 v20, v[70:71] offset:6528                     // 000000008120: D89A1980 00004614
	ds_write_b64 v20, v[72:73] offset:8704                     // 000000008128: D89A2200 00004814
	v_lshrrev_b32_e32 v4, 5, v0                                // 000000008130: 20080085
	v_xor_b32_e32 v5, 1, v4                                    // 000000008134: 2A0A0881
	s_mul_i32 s60, s65, 2                                      // 000000008138: 923C8241
	s_cmp_eq_u32 s88, 0                                        // 00000000813C: BF068058
	s_cselect_b32 s61, 1, 4                                    // 000000008140: 853D8481
	s_mul_i32 s60, s61, s60                                    // 000000008144: 923C3C3D
	v_readlane_b32 s82, v3, 0                                  // 000000008148: D2890052 00010103
	s_lshr_b32 s61, s82, 24                                    // 000000008150: 8F3D9852
	s_and_b32 s82, s82, 0xffffff                               // 000000008154: 8652FF52 00FFFFFF
	s_mul_i32 s82, s82, s71                                    // 00000000815C: 92524752
	s_mul_i32 s61, s60, s61                                    // 000000008160: 923D3D3C
	s_add_u32 s82, s82, s61                                    // 000000008164: 80523D52
	v_mul_lo_u32 v6, v5, s82                                   // 000000008168: D2850006 0000A505
	v_readlane_b32 s82, v3, 1                                  // 000000008170: D2890052 00010303
	s_lshr_b32 s61, s82, 24                                    // 000000008178: 8F3D9852
	s_and_b32 s82, s82, 0xffffff                               // 00000000817C: 8652FF52 00FFFFFF
	s_mul_i32 s82, s82, s71                                    // 000000008184: 92524752
	s_mul_i32 s61, s60, s61                                    // 000000008188: 923D3D3C
	s_add_u32 s82, s82, s61                                    // 00000000818C: 80523D52
	v_mul_lo_u32 v7, v4, s82                                   // 000000008190: D2850007 0000A504
	v_add_u32_e32 v50, v6, v7                                  // 000000008198: 68640F06
	v_readlane_b32 s82, v3, 2                                  // 00000000819C: D2890052 00010503
	s_lshr_b32 s61, s82, 24                                    // 0000000081A4: 8F3D9852
	s_and_b32 s82, s82, 0xffffff                               // 0000000081A8: 8652FF52 00FFFFFF
	s_mul_i32 s82, s82, s71                                    // 0000000081B0: 92524752
	s_mul_i32 s61, s60, s61                                    // 0000000081B4: 923D3D3C
	s_add_u32 s82, s82, s61                                    // 0000000081B8: 80523D52
	v_mul_lo_u32 v6, v5, s82                                   // 0000000081BC: D2850006 0000A505
	v_readlane_b32 s82, v3, 3                                  // 0000000081C4: D2890052 00010703
	s_lshr_b32 s61, s82, 24                                    // 0000000081CC: 8F3D9852
	s_and_b32 s82, s82, 0xffffff                               // 0000000081D0: 8652FF52 00FFFFFF
	s_mul_i32 s82, s82, s71                                    // 0000000081D8: 92524752
	s_mul_i32 s61, s60, s61                                    // 0000000081DC: 923D3D3C
	s_add_u32 s82, s82, s61                                    // 0000000081E0: 80523D52
	v_mul_lo_u32 v7, v4, s82                                   // 0000000081E4: D2850007 0000A504
	v_add_u32_e32 v51, v6, v7                                  // 0000000081EC: 68660F06
	v_readlane_b32 s82, v3, 4                                  // 0000000081F0: D2890052 00010903
	s_lshr_b32 s61, s82, 24                                    // 0000000081F8: 8F3D9852
	s_and_b32 s82, s82, 0xffffff                               // 0000000081FC: 8652FF52 00FFFFFF
	s_mul_i32 s82, s82, s71                                    // 000000008204: 92524752
	s_mul_i32 s61, s60, s61                                    // 000000008208: 923D3D3C
	s_add_u32 s82, s82, s61                                    // 00000000820C: 80523D52
	v_mul_lo_u32 v6, v5, s82                                   // 000000008210: D2850006 0000A505
	v_readlane_b32 s82, v3, 5                                  // 000000008218: D2890052 00010B03
	s_lshr_b32 s61, s82, 24                                    // 000000008220: 8F3D9852
	s_and_b32 s82, s82, 0xffffff                               // 000000008224: 8652FF52 00FFFFFF
	s_mul_i32 s82, s82, s71                                    // 00000000822C: 92524752
	s_mul_i32 s61, s60, s61                                    // 000000008230: 923D3D3C
	s_add_u32 s82, s82, s61                                    // 000000008234: 80523D52
	v_mul_lo_u32 v7, v4, s82                                   // 000000008238: D2850007 0000A504
	v_add_u32_e32 v52, v6, v7                                  // 000000008240: 68680F06
	v_readlane_b32 s82, v3, 6                                  // 000000008244: D2890052 00010D03
	s_lshr_b32 s61, s82, 24                                    // 00000000824C: 8F3D9852
	s_and_b32 s82, s82, 0xffffff                               // 000000008250: 8652FF52 00FFFFFF
	s_mul_i32 s82, s82, s71                                    // 000000008258: 92524752
	s_mul_i32 s61, s60, s61                                    // 00000000825C: 923D3D3C
	s_add_u32 s82, s82, s61                                    // 000000008260: 80523D52
	v_mul_lo_u32 v6, v5, s82                                   // 000000008264: D2850006 0000A505
	v_readlane_b32 s82, v3, 7                                  // 00000000826C: D2890052 00010F03
	s_lshr_b32 s61, s82, 24                                    // 000000008274: 8F3D9852
	s_and_b32 s82, s82, 0xffffff                               // 000000008278: 8652FF52 00FFFFFF
	s_mul_i32 s82, s82, s71                                    // 000000008280: 92524752
	s_mul_i32 s61, s60, s61                                    // 000000008284: 923D3D3C
	s_add_u32 s82, s82, s61                                    // 000000008288: 80523D52
	v_mul_lo_u32 v7, v4, s82                                   // 00000000828C: D2850007 0000A504
	v_add_u32_e32 v53, v6, v7                                  // 000000008294: 686A0F06
	v_readlane_b32 s82, v3, 8                                  // 000000008298: D2890052 00011103
	s_lshr_b32 s61, s82, 24                                    // 0000000082A0: 8F3D9852
	s_and_b32 s82, s82, 0xffffff                               // 0000000082A4: 8652FF52 00FFFFFF
	s_mul_i32 s82, s82, s71                                    // 0000000082AC: 92524752
	s_mul_i32 s61, s60, s61                                    // 0000000082B0: 923D3D3C
	s_add_u32 s82, s82, s61                                    // 0000000082B4: 80523D52
	v_mul_lo_u32 v6, v5, s82                                   // 0000000082B8: D2850006 0000A505
	v_readlane_b32 s82, v3, 9                                  // 0000000082C0: D2890052 00011303
	s_lshr_b32 s61, s82, 24                                    // 0000000082C8: 8F3D9852
	s_and_b32 s82, s82, 0xffffff                               // 0000000082CC: 8652FF52 00FFFFFF
	s_mul_i32 s82, s82, s71                                    // 0000000082D4: 92524752
	s_mul_i32 s61, s60, s61                                    // 0000000082D8: 923D3D3C
	s_add_u32 s82, s82, s61                                    // 0000000082DC: 80523D52
	v_mul_lo_u32 v7, v4, s82                                   // 0000000082E0: D2850007 0000A504
	v_add_u32_e32 v54, v6, v7                                  // 0000000082E8: 686C0F06
	v_readlane_b32 s82, v3, 10                                 // 0000000082EC: D2890052 00011503
	s_lshr_b32 s61, s82, 24                                    // 0000000082F4: 8F3D9852
	s_and_b32 s82, s82, 0xffffff                               // 0000000082F8: 8652FF52 00FFFFFF
	s_mul_i32 s82, s82, s71                                    // 000000008300: 92524752
	s_mul_i32 s61, s60, s61                                    // 000000008304: 923D3D3C
	s_add_u32 s82, s82, s61                                    // 000000008308: 80523D52
	v_mul_lo_u32 v6, v5, s82                                   // 00000000830C: D2850006 0000A505
	v_readlane_b32 s82, v3, 11                                 // 000000008314: D2890052 00011703
	s_lshr_b32 s61, s82, 24                                    // 00000000831C: 8F3D9852
	s_and_b32 s82, s82, 0xffffff                               // 000000008320: 8652FF52 00FFFFFF
	s_mul_i32 s82, s82, s71                                    // 000000008328: 92524752
	s_mul_i32 s61, s60, s61                                    // 00000000832C: 923D3D3C
	s_add_u32 s82, s82, s61                                    // 000000008330: 80523D52
	v_mul_lo_u32 v7, v4, s82                                   // 000000008334: D2850007 0000A504
	v_add_u32_e32 v55, v6, v7                                  // 00000000833C: 686E0F06
	v_readlane_b32 s82, v3, 12                                 // 000000008340: D2890052 00011903
	s_lshr_b32 s61, s82, 24                                    // 000000008348: 8F3D9852
	s_and_b32 s82, s82, 0xffffff                               // 00000000834C: 8652FF52 00FFFFFF
	s_mul_i32 s82, s82, s71                                    // 000000008354: 92524752
	s_mul_i32 s61, s60, s61                                    // 000000008358: 923D3D3C
	s_add_u32 s82, s82, s61                                    // 00000000835C: 80523D52
	v_mul_lo_u32 v6, v5, s82                                   // 000000008360: D2850006 0000A505
	v_readlane_b32 s82, v3, 13                                 // 000000008368: D2890052 00011B03
	s_lshr_b32 s61, s82, 24                                    // 000000008370: 8F3D9852
	s_and_b32 s82, s82, 0xffffff                               // 000000008374: 8652FF52 00FFFFFF
	s_mul_i32 s82, s82, s71                                    // 00000000837C: 92524752
	s_mul_i32 s61, s60, s61                                    // 000000008380: 923D3D3C
	s_add_u32 s82, s82, s61                                    // 000000008384: 80523D52
	v_mul_lo_u32 v7, v4, s82                                   // 000000008388: D2850007 0000A504
	v_add_u32_e32 v56, v6, v7                                  // 000000008390: 68700F06
	v_readlane_b32 s82, v3, 14                                 // 000000008394: D2890052 00011D03
	s_lshr_b32 s61, s82, 24                                    // 00000000839C: 8F3D9852
	s_and_b32 s82, s82, 0xffffff                               // 0000000083A0: 8652FF52 00FFFFFF
	s_mul_i32 s82, s82, s71                                    // 0000000083A8: 92524752
	s_mul_i32 s61, s60, s61                                    // 0000000083AC: 923D3D3C
	s_add_u32 s82, s82, s61                                    // 0000000083B0: 80523D52
	v_mul_lo_u32 v6, v5, s82                                   // 0000000083B4: D2850006 0000A505
	v_readlane_b32 s82, v3, 15                                 // 0000000083BC: D2890052 00011F03
	s_lshr_b32 s61, s82, 24                                    // 0000000083C4: 8F3D9852
	s_and_b32 s82, s82, 0xffffff                               // 0000000083C8: 8652FF52 00FFFFFF
	s_mul_i32 s82, s82, s71                                    // 0000000083D0: 92524752
	s_mul_i32 s61, s60, s61                                    // 0000000083D4: 923D3D3C
	s_add_u32 s82, s82, s61                                    // 0000000083D8: 80523D52
	v_mul_lo_u32 v7, v4, s82                                   // 0000000083DC: D2850007 0000A504
	v_add_u32_e32 v57, v6, v7                                  // 0000000083E4: 68720F06
	v_readlane_b32 s82, v3, 16                                 // 0000000083E8: D2890052 00012103
	s_lshr_b32 s61, s82, 24                                    // 0000000083F0: 8F3D9852
	s_and_b32 s82, s82, 0xffffff                               // 0000000083F4: 8652FF52 00FFFFFF
	s_mul_i32 s82, s82, s71                                    // 0000000083FC: 92524752
	s_mul_i32 s61, s60, s61                                    // 000000008400: 923D3D3C
	s_add_u32 s82, s82, s61                                    // 000000008404: 80523D52
	v_mul_lo_u32 v6, v5, s82                                   // 000000008408: D2850006 0000A505
	v_readlane_b32 s82, v3, 17                                 // 000000008410: D2890052 00012303
	s_lshr_b32 s61, s82, 24                                    // 000000008418: 8F3D9852
	s_and_b32 s82, s82, 0xffffff                               // 00000000841C: 8652FF52 00FFFFFF
	s_mul_i32 s82, s82, s71                                    // 000000008424: 92524752
	s_mul_i32 s61, s60, s61                                    // 000000008428: 923D3D3C
	s_add_u32 s82, s82, s61                                    // 00000000842C: 80523D52
	v_mul_lo_u32 v7, v4, s82                                   // 000000008430: D2850007 0000A504
	v_add_u32_e32 v58, v6, v7                                  // 000000008438: 68740F06
	v_readlane_b32 s82, v3, 18                                 // 00000000843C: D2890052 00012503
	s_lshr_b32 s61, s82, 24                                    // 000000008444: 8F3D9852
	s_and_b32 s82, s82, 0xffffff                               // 000000008448: 8652FF52 00FFFFFF
	s_mul_i32 s82, s82, s71                                    // 000000008450: 92524752
	s_mul_i32 s61, s60, s61                                    // 000000008454: 923D3D3C
	s_add_u32 s82, s82, s61                                    // 000000008458: 80523D52
	v_mul_lo_u32 v6, v5, s82                                   // 00000000845C: D2850006 0000A505
	v_readlane_b32 s82, v3, 19                                 // 000000008464: D2890052 00012703
	s_lshr_b32 s61, s82, 24                                    // 00000000846C: 8F3D9852
	s_and_b32 s82, s82, 0xffffff                               // 000000008470: 8652FF52 00FFFFFF
	s_mul_i32 s82, s82, s71                                    // 000000008478: 92524752
	s_mul_i32 s61, s60, s61                                    // 00000000847C: 923D3D3C
	s_add_u32 s82, s82, s61                                    // 000000008480: 80523D52
	v_mul_lo_u32 v7, v4, s82                                   // 000000008484: D2850007 0000A504
	v_add_u32_e32 v59, v6, v7                                  // 00000000848C: 68760F06
	v_and_b32_e32 v4, 31, v0                                   // 000000008490: 2608009F
	v_lshrrev_b32_e32 v4, 1, v4                                // 000000008494: 20080881
	s_cmp_eq_u32 s88, 0                                        // 000000008498: BF068058
	s_cselect_b32 s61, 2, 4                                    // 00000000849C: 853D8482
	v_mul_lo_u32 v4, v4, s61                                   // 0000000084A0: D2850004 00007B04
	v_and_b32_e64 v5, v0, 1                                    // 0000000084A8: D1130005 00010300
	v_add_u32_e32 v4, v4, v5                                   // 0000000084B0: 68080B04
	v_lshlrev_b32_e32 v4, 2, v4                                // 0000000084B4: 24080882
	v_add_u32_e32 v50, v50, v4                                 // 0000000084B8: 68640932
	v_add_u32_e32 v51, v51, v4                                 // 0000000084BC: 68660933
	v_add_u32_e32 v52, v52, v4                                 // 0000000084C0: 68680934
	v_add_u32_e32 v53, v53, v4                                 // 0000000084C4: 686A0935
	v_add_u32_e32 v54, v54, v4                                 // 0000000084C8: 686C0936
	v_add_u32_e32 v55, v55, v4                                 // 0000000084CC: 686E0937
	v_add_u32_e32 v56, v56, v4                                 // 0000000084D0: 68700938
	v_add_u32_e32 v57, v57, v4                                 // 0000000084D4: 68720939
	v_add_u32_e32 v58, v58, v4                                 // 0000000084D8: 6874093A
	v_add_u32_e32 v59, v59, v4                                 // 0000000084DC: 6876093B
	s_waitcnt lgkmcnt(0)                                       // 0000000084E0: BF8CC07F
	s_barrier                                                  // 0000000084E4: BF8A0000
	ds_read_b32 v64, v21                                       // 0000000084E8: D86C0000 40000015
	ds_read_b32 v65, v21 offset:64                             // 0000000084F0: D86C0040 41000015
	ds_read_b32 v66, v21 offset:2176                           // 0000000084F8: D86C0880 42000015
	ds_read_b32 v67, v21 offset:2240                           // 000000008500: D86C08C0 43000015
	ds_read_b32 v68, v21 offset:4352                           // 000000008508: D86C1100 44000015
	ds_read_b32 v69, v21 offset:4416                           // 000000008510: D86C1140 45000015
	ds_read_b32 v70, v21 offset:6528                           // 000000008518: D86C1980 46000015
	ds_read_b32 v71, v21 offset:6592                           // 000000008520: D86C19C0 47000015
	ds_read_b32 v72, v21 offset:8704                           // 000000008528: D86C2200 48000015
	ds_read_b32 v73, v21 offset:8768                           // 000000008530: D86C2240 49000015
	s_waitcnt lgkmcnt(0)                                       // 000000008538: BF8CC07F
	s_mov_b32 s36, -1                                          // 00000000853C: BEA400C1
	s_mov_b32 s37, -1                                          // 000000008540: BEA500C1
	v_mov_b32_e32 v7, 0                                        // 000000008544: 7E0E0280
	s_or_b32 s9, s9, 0x40000                                   // 000000008548: 8709FF09 00040000
	s_mov_b64 exec, s[36:37]                                   // 000000008550: BEFE0124
	v_mov_b32_e32 v6, v50                                      // 000000008554: 7E0C0332
	s_mov_b64 s[60:61], 0                                      // 000000008558: BEBC0180
	v_readlane_b32 s82, v3, 0                                  // 00000000855C: D2890052 00010103
	s_and_b32 s82, s82, 0xffffff                               // 000000008564: 8652FF52 00FFFFFF
	s_cmp_lt_u32 s82, s66                                      // 00000000856C: BF0A4252
	s_cselect_b32 s20, s36, s60                                // 000000008570: 85143C24
	v_readlane_b32 s82, v3, 1                                  // 000000008574: D2890052 00010303
	s_and_b32 s82, s82, 0xffffff                               // 00000000857C: 8652FF52 00FFFFFF
	s_cmp_lt_u32 s82, s66                                      // 000000008584: BF0A4252
	s_cselect_b32 s21, s36, s60                                // 000000008588: 85153C24
	s_mov_b64 exec, s[20:21]                                   // 00000000858C: BEFE0114
	buffer_store_dword v64, v6, s[8:11], 0 offen               // 000000008590: E0701000 80024006
	s_mov_b64 exec, s[36:37]                                   // 000000008598: BEFE0124
	v_mov_b32_e32 v6, v51                                      // 00000000859C: 7E0C0333
	s_mov_b64 s[60:61], 0                                      // 0000000085A0: BEBC0180
	v_readlane_b32 s82, v3, 2                                  // 0000000085A4: D2890052 00010503
	s_and_b32 s82, s82, 0xffffff                               // 0000000085AC: 8652FF52 00FFFFFF
	s_cmp_lt_u32 s82, s66                                      // 0000000085B4: BF0A4252
	s_cselect_b32 s20, s36, s60                                // 0000000085B8: 85143C24
	v_readlane_b32 s82, v3, 3                                  // 0000000085BC: D2890052 00010703
	s_and_b32 s82, s82, 0xffffff                               // 0000000085C4: 8652FF52 00FFFFFF
	s_cmp_lt_u32 s82, s66                                      // 0000000085CC: BF0A4252
	s_cselect_b32 s21, s36, s60                                // 0000000085D0: 85153C24
	s_mov_b64 exec, s[20:21]                                   // 0000000085D4: BEFE0114
	buffer_store_dword v65, v6, s[8:11], 0 offen               // 0000000085D8: E0701000 80024106
	s_mov_b64 exec, s[36:37]                                   // 0000000085E0: BEFE0124
	v_mov_b32_e32 v6, v52                                      // 0000000085E4: 7E0C0334
	s_mov_b64 s[60:61], 0                                      // 0000000085E8: BEBC0180
	v_readlane_b32 s82, v3, 4                                  // 0000000085EC: D2890052 00010903
	s_and_b32 s82, s82, 0xffffff                               // 0000000085F4: 8652FF52 00FFFFFF
	s_cmp_lt_u32 s82, s66                                      // 0000000085FC: BF0A4252
	s_cselect_b32 s20, s36, s60                                // 000000008600: 85143C24
	v_readlane_b32 s82, v3, 5                                  // 000000008604: D2890052 00010B03
	s_and_b32 s82, s82, 0xffffff                               // 00000000860C: 8652FF52 00FFFFFF
	s_cmp_lt_u32 s82, s66                                      // 000000008614: BF0A4252
	s_cselect_b32 s21, s36, s60                                // 000000008618: 85153C24
	s_mov_b64 exec, s[20:21]                                   // 00000000861C: BEFE0114
	buffer_store_dword v66, v6, s[8:11], 0 offen               // 000000008620: E0701000 80024206
	s_mov_b64 exec, s[36:37]                                   // 000000008628: BEFE0124
	v_mov_b32_e32 v6, v53                                      // 00000000862C: 7E0C0335
	s_mov_b64 s[60:61], 0                                      // 000000008630: BEBC0180
	v_readlane_b32 s82, v3, 6                                  // 000000008634: D2890052 00010D03
	s_and_b32 s82, s82, 0xffffff                               // 00000000863C: 8652FF52 00FFFFFF
	s_cmp_lt_u32 s82, s66                                      // 000000008644: BF0A4252
	s_cselect_b32 s20, s36, s60                                // 000000008648: 85143C24
	v_readlane_b32 s82, v3, 7                                  // 00000000864C: D2890052 00010F03
	s_and_b32 s82, s82, 0xffffff                               // 000000008654: 8652FF52 00FFFFFF
	s_cmp_lt_u32 s82, s66                                      // 00000000865C: BF0A4252
	s_cselect_b32 s21, s36, s60                                // 000000008660: 85153C24
	s_mov_b64 exec, s[20:21]                                   // 000000008664: BEFE0114
	buffer_store_dword v67, v6, s[8:11], 0 offen               // 000000008668: E0701000 80024306
	s_mov_b64 exec, s[36:37]                                   // 000000008670: BEFE0124
	v_mov_b32_e32 v6, v54                                      // 000000008674: 7E0C0336
	s_mov_b64 s[60:61], 0                                      // 000000008678: BEBC0180
	v_readlane_b32 s82, v3, 8                                  // 00000000867C: D2890052 00011103
	s_and_b32 s82, s82, 0xffffff                               // 000000008684: 8652FF52 00FFFFFF
	s_cmp_lt_u32 s82, s66                                      // 00000000868C: BF0A4252
	s_cselect_b32 s20, s36, s60                                // 000000008690: 85143C24
	v_readlane_b32 s82, v3, 9                                  // 000000008694: D2890052 00011303
	s_and_b32 s82, s82, 0xffffff                               // 00000000869C: 8652FF52 00FFFFFF
	s_cmp_lt_u32 s82, s66                                      // 0000000086A4: BF0A4252
	s_cselect_b32 s21, s36, s60                                // 0000000086A8: 85153C24
	s_mov_b64 exec, s[20:21]                                   // 0000000086AC: BEFE0114
	buffer_store_dword v68, v6, s[8:11], 0 offen               // 0000000086B0: E0701000 80024406
	s_mov_b64 exec, s[36:37]                                   // 0000000086B8: BEFE0124
	v_mov_b32_e32 v6, v55                                      // 0000000086BC: 7E0C0337
	s_mov_b64 s[60:61], 0                                      // 0000000086C0: BEBC0180
	v_readlane_b32 s82, v3, 10                                 // 0000000086C4: D2890052 00011503
	s_and_b32 s82, s82, 0xffffff                               // 0000000086CC: 8652FF52 00FFFFFF
	s_cmp_lt_u32 s82, s66                                      // 0000000086D4: BF0A4252
	s_cselect_b32 s20, s36, s60                                // 0000000086D8: 85143C24
	v_readlane_b32 s82, v3, 11                                 // 0000000086DC: D2890052 00011703
	s_and_b32 s82, s82, 0xffffff                               // 0000000086E4: 8652FF52 00FFFFFF
	s_cmp_lt_u32 s82, s66                                      // 0000000086EC: BF0A4252
	s_cselect_b32 s21, s36, s60                                // 0000000086F0: 85153C24
	s_mov_b64 exec, s[20:21]                                   // 0000000086F4: BEFE0114
	buffer_store_dword v69, v6, s[8:11], 0 offen               // 0000000086F8: E0701000 80024506
	s_mov_b64 exec, s[36:37]                                   // 000000008700: BEFE0124
	v_mov_b32_e32 v6, v56                                      // 000000008704: 7E0C0338
	s_mov_b64 s[60:61], 0                                      // 000000008708: BEBC0180
	v_readlane_b32 s82, v3, 12                                 // 00000000870C: D2890052 00011903
	s_and_b32 s82, s82, 0xffffff                               // 000000008714: 8652FF52 00FFFFFF
	s_cmp_lt_u32 s82, s66                                      // 00000000871C: BF0A4252
	s_cselect_b32 s20, s36, s60                                // 000000008720: 85143C24
	v_readlane_b32 s82, v3, 13                                 // 000000008724: D2890052 00011B03
	s_and_b32 s82, s82, 0xffffff                               // 00000000872C: 8652FF52 00FFFFFF
	s_cmp_lt_u32 s82, s66                                      // 000000008734: BF0A4252
	s_cselect_b32 s21, s36, s60                                // 000000008738: 85153C24
	s_mov_b64 exec, s[20:21]                                   // 00000000873C: BEFE0114
	buffer_store_dword v70, v6, s[8:11], 0 offen               // 000000008740: E0701000 80024606
	s_mov_b64 exec, s[36:37]                                   // 000000008748: BEFE0124
	v_mov_b32_e32 v6, v57                                      // 00000000874C: 7E0C0339
	s_mov_b64 s[60:61], 0                                      // 000000008750: BEBC0180
	v_readlane_b32 s82, v3, 14                                 // 000000008754: D2890052 00011D03
	s_and_b32 s82, s82, 0xffffff                               // 00000000875C: 8652FF52 00FFFFFF
	s_cmp_lt_u32 s82, s66                                      // 000000008764: BF0A4252
	s_cselect_b32 s20, s36, s60                                // 000000008768: 85143C24
	v_readlane_b32 s82, v3, 15                                 // 00000000876C: D2890052 00011F03
	s_and_b32 s82, s82, 0xffffff                               // 000000008774: 8652FF52 00FFFFFF
	s_cmp_lt_u32 s82, s66                                      // 00000000877C: BF0A4252
	s_cselect_b32 s21, s36, s60                                // 000000008780: 85153C24
	s_mov_b64 exec, s[20:21]                                   // 000000008784: BEFE0114
	buffer_store_dword v71, v6, s[8:11], 0 offen               // 000000008788: E0701000 80024706
	s_mov_b64 exec, s[36:37]                                   // 000000008790: BEFE0124
	v_mov_b32_e32 v6, v58                                      // 000000008794: 7E0C033A
	s_mov_b64 s[60:61], 0                                      // 000000008798: BEBC0180
	v_readlane_b32 s82, v3, 16                                 // 00000000879C: D2890052 00012103
	s_and_b32 s82, s82, 0xffffff                               // 0000000087A4: 8652FF52 00FFFFFF
	s_cmp_lt_u32 s82, s66                                      // 0000000087AC: BF0A4252
	s_cselect_b32 s20, s36, s60                                // 0000000087B0: 85143C24
	v_readlane_b32 s82, v3, 17                                 // 0000000087B4: D2890052 00012303
	s_and_b32 s82, s82, 0xffffff                               // 0000000087BC: 8652FF52 00FFFFFF
	s_cmp_lt_u32 s82, s66                                      // 0000000087C4: BF0A4252
	s_cselect_b32 s21, s36, s60                                // 0000000087C8: 85153C24
	s_mov_b64 exec, s[20:21]                                   // 0000000087CC: BEFE0114
	buffer_store_dword v72, v6, s[8:11], 0 offen               // 0000000087D0: E0701000 80024806
	s_mov_b64 exec, s[36:37]                                   // 0000000087D8: BEFE0124
	v_mov_b32_e32 v6, v59                                      // 0000000087DC: 7E0C033B
	s_mov_b64 s[60:61], 0                                      // 0000000087E0: BEBC0180
	v_readlane_b32 s82, v3, 18                                 // 0000000087E4: D2890052 00012503
	s_and_b32 s82, s82, 0xffffff                               // 0000000087EC: 8652FF52 00FFFFFF
	s_cmp_lt_u32 s82, s66                                      // 0000000087F4: BF0A4252
	s_cselect_b32 s20, s36, s60                                // 0000000087F8: 85143C24
	v_readlane_b32 s82, v3, 19                                 // 0000000087FC: D2890052 00012703
	s_and_b32 s82, s82, 0xffffff                               // 000000008804: 8652FF52 00FFFFFF
	s_cmp_lt_u32 s82, s66                                      // 00000000880C: BF0A4252
	s_cselect_b32 s21, s36, s60                                // 000000008810: 85153C24
	s_mov_b64 exec, s[20:21]                                   // 000000008814: BEFE0114
	buffer_store_dword v73, v6, s[8:11], 0 offen               // 000000008818: E0701000 80024906
	s_mov_b64 exec, s[36:37]                                   // 000000008820: BEFE0124
	s_branch label_1BDB                                        // 000000008824: BF82044E

0000000000008828 <label_178D>:
	ds_write_b64 v20, v[64:65]                                 // 000000008828: D89A0000 00004014
	ds_write_b64 v20, v[68:69] offset:2176                     // 000000008830: D89A0880 00004414
	ds_write_b64 v20, v[72:73] offset:4352                     // 000000008838: D89A1100 00004814
	ds_write_b64 v20, v[76:77] offset:6528                     // 000000008840: D89A1980 00004C14
	ds_write_b64 v20, v[80:81] offset:8704                     // 000000008848: D89A2200 00005014
	v_lshrrev_b32_e32 v4, 5, v0                                // 000000008850: 20080085
	v_xor_b32_e32 v5, 1, v4                                    // 000000008854: 2A0A0881
	s_mul_i32 s60, s65, 2                                      // 000000008858: 923C8241
	s_cmp_eq_u32 s88, 0                                        // 00000000885C: BF068058
	s_cselect_b32 s61, 1, 4                                    // 000000008860: 853D8481
	s_mul_i32 s60, s61, s60                                    // 000000008864: 923C3C3D
	v_readlane_b32 s82, v3, 0                                  // 000000008868: D2890052 00010103
	s_lshr_b32 s61, s82, 24                                    // 000000008870: 8F3D9852
	s_and_b32 s82, s82, 0xffffff                               // 000000008874: 8652FF52 00FFFFFF
	s_mul_i32 s82, s82, s71                                    // 00000000887C: 92524752
	s_mul_i32 s61, s60, s61                                    // 000000008880: 923D3D3C
	s_add_u32 s82, s82, s61                                    // 000000008884: 80523D52
	v_mul_lo_u32 v6, v5, s82                                   // 000000008888: D2850006 0000A505
	v_readlane_b32 s82, v3, 1                                  // 000000008890: D2890052 00010303
	s_lshr_b32 s61, s82, 24                                    // 000000008898: 8F3D9852
	s_and_b32 s82, s82, 0xffffff                               // 00000000889C: 8652FF52 00FFFFFF
	s_mul_i32 s82, s82, s71                                    // 0000000088A4: 92524752
	s_mul_i32 s61, s60, s61                                    // 0000000088A8: 923D3D3C
	s_add_u32 s82, s82, s61                                    // 0000000088AC: 80523D52
	v_mul_lo_u32 v7, v4, s82                                   // 0000000088B0: D2850007 0000A504
	v_add_u32_e32 v50, v6, v7                                  // 0000000088B8: 68640F06
	v_readlane_b32 s82, v3, 2                                  // 0000000088BC: D2890052 00010503
	s_lshr_b32 s61, s82, 24                                    // 0000000088C4: 8F3D9852
	s_and_b32 s82, s82, 0xffffff                               // 0000000088C8: 8652FF52 00FFFFFF
	s_mul_i32 s82, s82, s71                                    // 0000000088D0: 92524752
	s_mul_i32 s61, s60, s61                                    // 0000000088D4: 923D3D3C
	s_add_u32 s82, s82, s61                                    // 0000000088D8: 80523D52
	v_mul_lo_u32 v6, v5, s82                                   // 0000000088DC: D2850006 0000A505
	v_readlane_b32 s82, v3, 3                                  // 0000000088E4: D2890052 00010703
	s_lshr_b32 s61, s82, 24                                    // 0000000088EC: 8F3D9852
	s_and_b32 s82, s82, 0xffffff                               // 0000000088F0: 8652FF52 00FFFFFF
	s_mul_i32 s82, s82, s71                                    // 0000000088F8: 92524752
	s_mul_i32 s61, s60, s61                                    // 0000000088FC: 923D3D3C
	s_add_u32 s82, s82, s61                                    // 000000008900: 80523D52
	v_mul_lo_u32 v7, v4, s82                                   // 000000008904: D2850007 0000A504
	v_add_u32_e32 v51, v6, v7                                  // 00000000890C: 68660F06
	v_readlane_b32 s82, v3, 4                                  // 000000008910: D2890052 00010903
	s_lshr_b32 s61, s82, 24                                    // 000000008918: 8F3D9852
	s_and_b32 s82, s82, 0xffffff                               // 00000000891C: 8652FF52 00FFFFFF
	s_mul_i32 s82, s82, s71                                    // 000000008924: 92524752
	s_mul_i32 s61, s60, s61                                    // 000000008928: 923D3D3C
	s_add_u32 s82, s82, s61                                    // 00000000892C: 80523D52
	v_mul_lo_u32 v6, v5, s82                                   // 000000008930: D2850006 0000A505
	v_readlane_b32 s82, v3, 5                                  // 000000008938: D2890052 00010B03
	s_lshr_b32 s61, s82, 24                                    // 000000008940: 8F3D9852
	s_and_b32 s82, s82, 0xffffff                               // 000000008944: 8652FF52 00FFFFFF
	s_mul_i32 s82, s82, s71                                    // 00000000894C: 92524752
	s_mul_i32 s61, s60, s61                                    // 000000008950: 923D3D3C
	s_add_u32 s82, s82, s61                                    // 000000008954: 80523D52
	v_mul_lo_u32 v7, v4, s82                                   // 000000008958: D2850007 0000A504
	v_add_u32_e32 v52, v6, v7                                  // 000000008960: 68680F06
	v_readlane_b32 s82, v3, 6                                  // 000000008964: D2890052 00010D03
	s_lshr_b32 s61, s82, 24                                    // 00000000896C: 8F3D9852
	s_and_b32 s82, s82, 0xffffff                               // 000000008970: 8652FF52 00FFFFFF
	s_mul_i32 s82, s82, s71                                    // 000000008978: 92524752
	s_mul_i32 s61, s60, s61                                    // 00000000897C: 923D3D3C
	s_add_u32 s82, s82, s61                                    // 000000008980: 80523D52
	v_mul_lo_u32 v6, v5, s82                                   // 000000008984: D2850006 0000A505
	v_readlane_b32 s82, v3, 7                                  // 00000000898C: D2890052 00010F03
	s_lshr_b32 s61, s82, 24                                    // 000000008994: 8F3D9852
	s_and_b32 s82, s82, 0xffffff                               // 000000008998: 8652FF52 00FFFFFF
	s_mul_i32 s82, s82, s71                                    // 0000000089A0: 92524752
	s_mul_i32 s61, s60, s61                                    // 0000000089A4: 923D3D3C
	s_add_u32 s82, s82, s61                                    // 0000000089A8: 80523D52
	v_mul_lo_u32 v7, v4, s82                                   // 0000000089AC: D2850007 0000A504
	v_add_u32_e32 v53, v6, v7                                  // 0000000089B4: 686A0F06
	v_readlane_b32 s82, v3, 8                                  // 0000000089B8: D2890052 00011103
	s_lshr_b32 s61, s82, 24                                    // 0000000089C0: 8F3D9852
	s_and_b32 s82, s82, 0xffffff                               // 0000000089C4: 8652FF52 00FFFFFF
	s_mul_i32 s82, s82, s71                                    // 0000000089CC: 92524752
	s_mul_i32 s61, s60, s61                                    // 0000000089D0: 923D3D3C
	s_add_u32 s82, s82, s61                                    // 0000000089D4: 80523D52
	v_mul_lo_u32 v6, v5, s82                                   // 0000000089D8: D2850006 0000A505
	v_readlane_b32 s82, v3, 9                                  // 0000000089E0: D2890052 00011303
	s_lshr_b32 s61, s82, 24                                    // 0000000089E8: 8F3D9852
	s_and_b32 s82, s82, 0xffffff                               // 0000000089EC: 8652FF52 00FFFFFF
	s_mul_i32 s82, s82, s71                                    // 0000000089F4: 92524752
	s_mul_i32 s61, s60, s61                                    // 0000000089F8: 923D3D3C
	s_add_u32 s82, s82, s61                                    // 0000000089FC: 80523D52
	v_mul_lo_u32 v7, v4, s82                                   // 000000008A00: D2850007 0000A504
	v_add_u32_e32 v54, v6, v7                                  // 000000008A08: 686C0F06
	v_readlane_b32 s82, v3, 10                                 // 000000008A0C: D2890052 00011503
	s_lshr_b32 s61, s82, 24                                    // 000000008A14: 8F3D9852
	s_and_b32 s82, s82, 0xffffff                               // 000000008A18: 8652FF52 00FFFFFF
	s_mul_i32 s82, s82, s71                                    // 000000008A20: 92524752
	s_mul_i32 s61, s60, s61                                    // 000000008A24: 923D3D3C
	s_add_u32 s82, s82, s61                                    // 000000008A28: 80523D52
	v_mul_lo_u32 v6, v5, s82                                   // 000000008A2C: D2850006 0000A505
	v_readlane_b32 s82, v3, 11                                 // 000000008A34: D2890052 00011703
	s_lshr_b32 s61, s82, 24                                    // 000000008A3C: 8F3D9852
	s_and_b32 s82, s82, 0xffffff                               // 000000008A40: 8652FF52 00FFFFFF
	s_mul_i32 s82, s82, s71                                    // 000000008A48: 92524752
	s_mul_i32 s61, s60, s61                                    // 000000008A4C: 923D3D3C
	s_add_u32 s82, s82, s61                                    // 000000008A50: 80523D52
	v_mul_lo_u32 v7, v4, s82                                   // 000000008A54: D2850007 0000A504
	v_add_u32_e32 v55, v6, v7                                  // 000000008A5C: 686E0F06
	v_readlane_b32 s82, v3, 12                                 // 000000008A60: D2890052 00011903
	s_lshr_b32 s61, s82, 24                                    // 000000008A68: 8F3D9852
	s_and_b32 s82, s82, 0xffffff                               // 000000008A6C: 8652FF52 00FFFFFF
	s_mul_i32 s82, s82, s71                                    // 000000008A74: 92524752
	s_mul_i32 s61, s60, s61                                    // 000000008A78: 923D3D3C
	s_add_u32 s82, s82, s61                                    // 000000008A7C: 80523D52
	v_mul_lo_u32 v6, v5, s82                                   // 000000008A80: D2850006 0000A505
	v_readlane_b32 s82, v3, 13                                 // 000000008A88: D2890052 00011B03
	s_lshr_b32 s61, s82, 24                                    // 000000008A90: 8F3D9852
	s_and_b32 s82, s82, 0xffffff                               // 000000008A94: 8652FF52 00FFFFFF
	s_mul_i32 s82, s82, s71                                    // 000000008A9C: 92524752
	s_mul_i32 s61, s60, s61                                    // 000000008AA0: 923D3D3C
	s_add_u32 s82, s82, s61                                    // 000000008AA4: 80523D52
	v_mul_lo_u32 v7, v4, s82                                   // 000000008AA8: D2850007 0000A504
	v_add_u32_e32 v56, v6, v7                                  // 000000008AB0: 68700F06
	v_readlane_b32 s82, v3, 14                                 // 000000008AB4: D2890052 00011D03
	s_lshr_b32 s61, s82, 24                                    // 000000008ABC: 8F3D9852
	s_and_b32 s82, s82, 0xffffff                               // 000000008AC0: 8652FF52 00FFFFFF
	s_mul_i32 s82, s82, s71                                    // 000000008AC8: 92524752
	s_mul_i32 s61, s60, s61                                    // 000000008ACC: 923D3D3C
	s_add_u32 s82, s82, s61                                    // 000000008AD0: 80523D52
	v_mul_lo_u32 v6, v5, s82                                   // 000000008AD4: D2850006 0000A505
	v_readlane_b32 s82, v3, 15                                 // 000000008ADC: D2890052 00011F03
	s_lshr_b32 s61, s82, 24                                    // 000000008AE4: 8F3D9852
	s_and_b32 s82, s82, 0xffffff                               // 000000008AE8: 8652FF52 00FFFFFF
	s_mul_i32 s82, s82, s71                                    // 000000008AF0: 92524752
	s_mul_i32 s61, s60, s61                                    // 000000008AF4: 923D3D3C
	s_add_u32 s82, s82, s61                                    // 000000008AF8: 80523D52
	v_mul_lo_u32 v7, v4, s82                                   // 000000008AFC: D2850007 0000A504
	v_add_u32_e32 v57, v6, v7                                  // 000000008B04: 68720F06
	v_readlane_b32 s82, v3, 16                                 // 000000008B08: D2890052 00012103
	s_lshr_b32 s61, s82, 24                                    // 000000008B10: 8F3D9852
	s_and_b32 s82, s82, 0xffffff                               // 000000008B14: 8652FF52 00FFFFFF
	s_mul_i32 s82, s82, s71                                    // 000000008B1C: 92524752
	s_mul_i32 s61, s60, s61                                    // 000000008B20: 923D3D3C
	s_add_u32 s82, s82, s61                                    // 000000008B24: 80523D52
	v_mul_lo_u32 v6, v5, s82                                   // 000000008B28: D2850006 0000A505
	v_readlane_b32 s82, v3, 17                                 // 000000008B30: D2890052 00012303
	s_lshr_b32 s61, s82, 24                                    // 000000008B38: 8F3D9852
	s_and_b32 s82, s82, 0xffffff                               // 000000008B3C: 8652FF52 00FFFFFF
	s_mul_i32 s82, s82, s71                                    // 000000008B44: 92524752
	s_mul_i32 s61, s60, s61                                    // 000000008B48: 923D3D3C
	s_add_u32 s82, s82, s61                                    // 000000008B4C: 80523D52
	v_mul_lo_u32 v7, v4, s82                                   // 000000008B50: D2850007 0000A504
	v_add_u32_e32 v58, v6, v7                                  // 000000008B58: 68740F06
	v_readlane_b32 s82, v3, 18                                 // 000000008B5C: D2890052 00012503
	s_lshr_b32 s61, s82, 24                                    // 000000008B64: 8F3D9852
	s_and_b32 s82, s82, 0xffffff                               // 000000008B68: 8652FF52 00FFFFFF
	s_mul_i32 s82, s82, s71                                    // 000000008B70: 92524752
	s_mul_i32 s61, s60, s61                                    // 000000008B74: 923D3D3C
	s_add_u32 s82, s82, s61                                    // 000000008B78: 80523D52
	v_mul_lo_u32 v6, v5, s82                                   // 000000008B7C: D2850006 0000A505
	v_readlane_b32 s82, v3, 19                                 // 000000008B84: D2890052 00012703
	s_lshr_b32 s61, s82, 24                                    // 000000008B8C: 8F3D9852
	s_and_b32 s82, s82, 0xffffff                               // 000000008B90: 8652FF52 00FFFFFF
	s_mul_i32 s82, s82, s71                                    // 000000008B98: 92524752
	s_mul_i32 s61, s60, s61                                    // 000000008B9C: 923D3D3C
	s_add_u32 s82, s82, s61                                    // 000000008BA0: 80523D52
	v_mul_lo_u32 v7, v4, s82                                   // 000000008BA4: D2850007 0000A504
	v_add_u32_e32 v59, v6, v7                                  // 000000008BAC: 68760F06
	v_and_b32_e32 v4, 31, v0                                   // 000000008BB0: 2608009F
	v_lshrrev_b32_e32 v4, 1, v4                                // 000000008BB4: 20080881
	s_cmp_eq_u32 s88, 0                                        // 000000008BB8: BF068058
	s_cselect_b32 s61, 2, 4                                    // 000000008BBC: 853D8482
	v_mul_lo_u32 v4, v4, s61                                   // 000000008BC0: D2850004 00007B04
	v_and_b32_e64 v5, v0, 1                                    // 000000008BC8: D1130005 00010300
	v_add_u32_e32 v4, v4, v5                                   // 000000008BD0: 68080B04
	v_lshlrev_b32_e32 v4, 2, v4                                // 000000008BD4: 24080882
	v_add_u32_e32 v50, v50, v4                                 // 000000008BD8: 68640932
	v_add_u32_e32 v51, v51, v4                                 // 000000008BDC: 68660933
	v_add_u32_e32 v52, v52, v4                                 // 000000008BE0: 68680934
	v_add_u32_e32 v53, v53, v4                                 // 000000008BE4: 686A0935
	v_add_u32_e32 v54, v54, v4                                 // 000000008BE8: 686C0936
	v_add_u32_e32 v55, v55, v4                                 // 000000008BEC: 686E0937
	v_add_u32_e32 v56, v56, v4                                 // 000000008BF0: 68700938
	v_add_u32_e32 v57, v57, v4                                 // 000000008BF4: 68720939
	v_add_u32_e32 v58, v58, v4                                 // 000000008BF8: 6874093A
	v_add_u32_e32 v59, v59, v4                                 // 000000008BFC: 6876093B
	s_waitcnt lgkmcnt(0)                                       // 000000008C00: BF8CC07F
	s_barrier                                                  // 000000008C04: BF8A0000
	ds_read_b32 v64, v21                                       // 000000008C08: D86C0000 40000015
	ds_read_b32 v65, v21 offset:64                             // 000000008C10: D86C0040 41000015
	ds_read_b32 v68, v21 offset:2176                           // 000000008C18: D86C0880 44000015
	ds_read_b32 v69, v21 offset:2240                           // 000000008C20: D86C08C0 45000015
	ds_read_b32 v72, v21 offset:4352                           // 000000008C28: D86C1100 48000015
	ds_read_b32 v73, v21 offset:4416                           // 000000008C30: D86C1140 49000015
	ds_read_b32 v76, v21 offset:6528                           // 000000008C38: D86C1980 4C000015
	ds_read_b32 v77, v21 offset:6592                           // 000000008C40: D86C19C0 4D000015
	ds_read_b32 v80, v21 offset:8704                           // 000000008C48: D86C2200 50000015
	ds_read_b32 v81, v21 offset:8768                           // 000000008C50: D86C2240 51000015
	s_waitcnt lgkmcnt(0)                                       // 000000008C58: BF8CC07F
	s_mov_b32 s36, -1                                          // 000000008C5C: BEA400C1
	s_mov_b32 s37, -1                                          // 000000008C60: BEA500C1
	v_mov_b32_e32 v7, 0                                        // 000000008C64: 7E0E0280
	s_mov_b64 exec, s[36:37]                                   // 000000008C68: BEFE0124
	v_mov_b32_e32 v6, v50                                      // 000000008C6C: 7E0C0332
	s_mov_b64 s[60:61], 0                                      // 000000008C70: BEBC0180
	v_readlane_b32 s82, v3, 0                                  // 000000008C74: D2890052 00010103
	s_and_b32 s82, s82, 0xffffff                               // 000000008C7C: 8652FF52 00FFFFFF
	s_cmp_lt_u32 s82, s66                                      // 000000008C84: BF0A4252
	s_cselect_b32 s20, s36, s60                                // 000000008C88: 85143C24
	v_readlane_b32 s82, v3, 1                                  // 000000008C8C: D2890052 00010303
	s_and_b32 s82, s82, 0xffffff                               // 000000008C94: 8652FF52 00FFFFFF
	s_cmp_lt_u32 s82, s66                                      // 000000008C9C: BF0A4252
	s_cselect_b32 s21, s36, s60                                // 000000008CA0: 85153C24
	s_mov_b64 exec, s[20:21]                                   // 000000008CA4: BEFE0114
	global_atomic_add_f32 v6, v64, s[8:9]                      // 000000008CA8: DD348000 00084006
	s_mov_b64 exec, s[36:37]                                   // 000000008CB0: BEFE0124
	v_mov_b32_e32 v6, v51                                      // 000000008CB4: 7E0C0333
	s_mov_b64 s[60:61], 0                                      // 000000008CB8: BEBC0180
	v_readlane_b32 s82, v3, 2                                  // 000000008CBC: D2890052 00010503
	s_and_b32 s82, s82, 0xffffff                               // 000000008CC4: 8652FF52 00FFFFFF
	s_cmp_lt_u32 s82, s66                                      // 000000008CCC: BF0A4252
	s_cselect_b32 s20, s36, s60                                // 000000008CD0: 85143C24
	v_readlane_b32 s82, v3, 3                                  // 000000008CD4: D2890052 00010703
	s_and_b32 s82, s82, 0xffffff                               // 000000008CDC: 8652FF52 00FFFFFF
	s_cmp_lt_u32 s82, s66                                      // 000000008CE4: BF0A4252
	s_cselect_b32 s21, s36, s60                                // 000000008CE8: 85153C24
	s_mov_b64 exec, s[20:21]                                   // 000000008CEC: BEFE0114
	global_atomic_add_f32 v6, v65, s[8:9]                      // 000000008CF0: DD348000 00084106
	s_mov_b64 exec, s[36:37]                                   // 000000008CF8: BEFE0124
	v_mov_b32_e32 v6, v52                                      // 000000008CFC: 7E0C0334
	s_mov_b64 s[60:61], 0                                      // 000000008D00: BEBC0180
	v_readlane_b32 s82, v3, 4                                  // 000000008D04: D2890052 00010903
	s_and_b32 s82, s82, 0xffffff                               // 000000008D0C: 8652FF52 00FFFFFF
	s_cmp_lt_u32 s82, s66                                      // 000000008D14: BF0A4252
	s_cselect_b32 s20, s36, s60                                // 000000008D18: 85143C24
	v_readlane_b32 s82, v3, 5                                  // 000000008D1C: D2890052 00010B03
	s_and_b32 s82, s82, 0xffffff                               // 000000008D24: 8652FF52 00FFFFFF
	s_cmp_lt_u32 s82, s66                                      // 000000008D2C: BF0A4252
	s_cselect_b32 s21, s36, s60                                // 000000008D30: 85153C24
	s_mov_b64 exec, s[20:21]                                   // 000000008D34: BEFE0114
	global_atomic_add_f32 v6, v68, s[8:9]                      // 000000008D38: DD348000 00084406
	s_mov_b64 exec, s[36:37]                                   // 000000008D40: BEFE0124
	v_mov_b32_e32 v6, v53                                      // 000000008D44: 7E0C0335
	s_mov_b64 s[60:61], 0                                      // 000000008D48: BEBC0180
	v_readlane_b32 s82, v3, 6                                  // 000000008D4C: D2890052 00010D03
	s_and_b32 s82, s82, 0xffffff                               // 000000008D54: 8652FF52 00FFFFFF
	s_cmp_lt_u32 s82, s66                                      // 000000008D5C: BF0A4252
	s_cselect_b32 s20, s36, s60                                // 000000008D60: 85143C24
	v_readlane_b32 s82, v3, 7                                  // 000000008D64: D2890052 00010F03
	s_and_b32 s82, s82, 0xffffff                               // 000000008D6C: 8652FF52 00FFFFFF
	s_cmp_lt_u32 s82, s66                                      // 000000008D74: BF0A4252
	s_cselect_b32 s21, s36, s60                                // 000000008D78: 85153C24
	s_mov_b64 exec, s[20:21]                                   // 000000008D7C: BEFE0114
	global_atomic_add_f32 v6, v69, s[8:9]                      // 000000008D80: DD348000 00084506
	s_mov_b64 exec, s[36:37]                                   // 000000008D88: BEFE0124
	v_mov_b32_e32 v6, v54                                      // 000000008D8C: 7E0C0336
	s_mov_b64 s[60:61], 0                                      // 000000008D90: BEBC0180
	v_readlane_b32 s82, v3, 8                                  // 000000008D94: D2890052 00011103
	s_and_b32 s82, s82, 0xffffff                               // 000000008D9C: 8652FF52 00FFFFFF
	s_cmp_lt_u32 s82, s66                                      // 000000008DA4: BF0A4252
	s_cselect_b32 s20, s36, s60                                // 000000008DA8: 85143C24
	v_readlane_b32 s82, v3, 9                                  // 000000008DAC: D2890052 00011303
	s_and_b32 s82, s82, 0xffffff                               // 000000008DB4: 8652FF52 00FFFFFF
	s_cmp_lt_u32 s82, s66                                      // 000000008DBC: BF0A4252
	s_cselect_b32 s21, s36, s60                                // 000000008DC0: 85153C24
	s_mov_b64 exec, s[20:21]                                   // 000000008DC4: BEFE0114
	global_atomic_add_f32 v6, v72, s[8:9]                      // 000000008DC8: DD348000 00084806
	s_mov_b64 exec, s[36:37]                                   // 000000008DD0: BEFE0124
	v_mov_b32_e32 v6, v55                                      // 000000008DD4: 7E0C0337
	s_mov_b64 s[60:61], 0                                      // 000000008DD8: BEBC0180
	v_readlane_b32 s82, v3, 10                                 // 000000008DDC: D2890052 00011503
	s_and_b32 s82, s82, 0xffffff                               // 000000008DE4: 8652FF52 00FFFFFF
	s_cmp_lt_u32 s82, s66                                      // 000000008DEC: BF0A4252
	s_cselect_b32 s20, s36, s60                                // 000000008DF0: 85143C24
	v_readlane_b32 s82, v3, 11                                 // 000000008DF4: D2890052 00011703
	s_and_b32 s82, s82, 0xffffff                               // 000000008DFC: 8652FF52 00FFFFFF
	s_cmp_lt_u32 s82, s66                                      // 000000008E04: BF0A4252
	s_cselect_b32 s21, s36, s60                                // 000000008E08: 85153C24
	s_mov_b64 exec, s[20:21]                                   // 000000008E0C: BEFE0114
	global_atomic_add_f32 v6, v73, s[8:9]                      // 000000008E10: DD348000 00084906
	s_mov_b64 exec, s[36:37]                                   // 000000008E18: BEFE0124
	v_mov_b32_e32 v6, v56                                      // 000000008E1C: 7E0C0338
	s_mov_b64 s[60:61], 0                                      // 000000008E20: BEBC0180
	v_readlane_b32 s82, v3, 12                                 // 000000008E24: D2890052 00011903
	s_and_b32 s82, s82, 0xffffff                               // 000000008E2C: 8652FF52 00FFFFFF
	s_cmp_lt_u32 s82, s66                                      // 000000008E34: BF0A4252
	s_cselect_b32 s20, s36, s60                                // 000000008E38: 85143C24
	v_readlane_b32 s82, v3, 13                                 // 000000008E3C: D2890052 00011B03
	s_and_b32 s82, s82, 0xffffff                               // 000000008E44: 8652FF52 00FFFFFF
	s_cmp_lt_u32 s82, s66                                      // 000000008E4C: BF0A4252
	s_cselect_b32 s21, s36, s60                                // 000000008E50: 85153C24
	s_mov_b64 exec, s[20:21]                                   // 000000008E54: BEFE0114
	global_atomic_add_f32 v6, v76, s[8:9]                      // 000000008E58: DD348000 00084C06
	s_mov_b64 exec, s[36:37]                                   // 000000008E60: BEFE0124
	v_mov_b32_e32 v6, v57                                      // 000000008E64: 7E0C0339
	s_mov_b64 s[60:61], 0                                      // 000000008E68: BEBC0180
	v_readlane_b32 s82, v3, 14                                 // 000000008E6C: D2890052 00011D03
	s_and_b32 s82, s82, 0xffffff                               // 000000008E74: 8652FF52 00FFFFFF
	s_cmp_lt_u32 s82, s66                                      // 000000008E7C: BF0A4252
	s_cselect_b32 s20, s36, s60                                // 000000008E80: 85143C24
	v_readlane_b32 s82, v3, 15                                 // 000000008E84: D2890052 00011F03
	s_and_b32 s82, s82, 0xffffff                               // 000000008E8C: 8652FF52 00FFFFFF
	s_cmp_lt_u32 s82, s66                                      // 000000008E94: BF0A4252
	s_cselect_b32 s21, s36, s60                                // 000000008E98: 85153C24
	s_mov_b64 exec, s[20:21]                                   // 000000008E9C: BEFE0114
	global_atomic_add_f32 v6, v77, s[8:9]                      // 000000008EA0: DD348000 00084D06
	s_mov_b64 exec, s[36:37]                                   // 000000008EA8: BEFE0124
	v_mov_b32_e32 v6, v58                                      // 000000008EAC: 7E0C033A
	s_mov_b64 s[60:61], 0                                      // 000000008EB0: BEBC0180
	v_readlane_b32 s82, v3, 16                                 // 000000008EB4: D2890052 00012103
	s_and_b32 s82, s82, 0xffffff                               // 000000008EBC: 8652FF52 00FFFFFF
	s_cmp_lt_u32 s82, s66                                      // 000000008EC4: BF0A4252
	s_cselect_b32 s20, s36, s60                                // 000000008EC8: 85143C24
	v_readlane_b32 s82, v3, 17                                 // 000000008ECC: D2890052 00012303
	s_and_b32 s82, s82, 0xffffff                               // 000000008ED4: 8652FF52 00FFFFFF
	s_cmp_lt_u32 s82, s66                                      // 000000008EDC: BF0A4252
	s_cselect_b32 s21, s36, s60                                // 000000008EE0: 85153C24
	s_mov_b64 exec, s[20:21]                                   // 000000008EE4: BEFE0114
	global_atomic_add_f32 v6, v80, s[8:9]                      // 000000008EE8: DD348000 00085006
	s_mov_b64 exec, s[36:37]                                   // 000000008EF0: BEFE0124
	v_mov_b32_e32 v6, v59                                      // 000000008EF4: 7E0C033B
	s_mov_b64 s[60:61], 0                                      // 000000008EF8: BEBC0180
	v_readlane_b32 s82, v3, 18                                 // 000000008EFC: D2890052 00012503
	s_and_b32 s82, s82, 0xffffff                               // 000000008F04: 8652FF52 00FFFFFF
	s_cmp_lt_u32 s82, s66                                      // 000000008F0C: BF0A4252
	s_cselect_b32 s20, s36, s60                                // 000000008F10: 85143C24
	v_readlane_b32 s82, v3, 19                                 // 000000008F14: D2890052 00012703
	s_and_b32 s82, s82, 0xffffff                               // 000000008F1C: 8652FF52 00FFFFFF
	s_cmp_lt_u32 s82, s66                                      // 000000008F24: BF0A4252
	s_cselect_b32 s21, s36, s60                                // 000000008F28: 85153C24
	s_mov_b64 exec, s[20:21]                                   // 000000008F2C: BEFE0114
	global_atomic_add_f32 v6, v81, s[8:9]                      // 000000008F30: DD348000 00085106
	s_mov_b64 exec, s[36:37]                                   // 000000008F38: BEFE0124
	ds_write_b64 v20, v[66:67]                                 // 000000008F3C: D89A0000 00004214
	ds_write_b64 v20, v[70:71] offset:2176                     // 000000008F44: D89A0880 00004614
	ds_write_b64 v20, v[74:75] offset:4352                     // 000000008F4C: D89A1100 00004A14
	ds_write_b64 v20, v[78:79] offset:6528                     // 000000008F54: D89A1980 00004E14
	ds_write_b64 v20, v[82:83] offset:8704                     // 000000008F5C: D89A2200 00005214
	s_waitcnt lgkmcnt(0)                                       // 000000008F64: BF8CC07F
	s_barrier                                                  // 000000008F68: BF8A0000
	ds_read_b32 v66, v21                                       // 000000008F6C: D86C0000 42000015
	ds_read_b32 v67, v21 offset:64                             // 000000008F74: D86C0040 43000015
	ds_read_b32 v70, v21 offset:2176                           // 000000008F7C: D86C0880 46000015
	ds_read_b32 v71, v21 offset:2240                           // 000000008F84: D86C08C0 47000015
	ds_read_b32 v74, v21 offset:4352                           // 000000008F8C: D86C1100 4A000015
	ds_read_b32 v75, v21 offset:4416                           // 000000008F94: D86C1140 4B000015
	ds_read_b32 v78, v21 offset:6528                           // 000000008F9C: D86C1980 4E000015
	ds_read_b32 v79, v21 offset:6592                           // 000000008FA4: D86C19C0 4F000015
	ds_read_b32 v82, v21 offset:8704                           // 000000008FAC: D86C2200 52000015
	ds_read_b32 v83, v21 offset:8768                           // 000000008FB4: D86C2240 53000015
	s_waitcnt lgkmcnt(0)                                       // 000000008FBC: BF8CC07F
	v_mov_b32_e32 v7, 0                                        // 000000008FC0: 7E0E0280
	s_mov_b64 exec, s[36:37]                                   // 000000008FC4: BEFE0124
	v_mov_b32_e32 v6, v50                                      // 000000008FC8: 7E0C0332
	s_mov_b64 s[60:61], 0                                      // 000000008FCC: BEBC0180
	v_readlane_b32 s82, v3, 0                                  // 000000008FD0: D2890052 00010103
	s_and_b32 s82, s82, 0xffffff                               // 000000008FD8: 8652FF52 00FFFFFF
	s_cmp_lt_u32 s82, s66                                      // 000000008FE0: BF0A4252
	s_cselect_b32 s20, s36, s60                                // 000000008FE4: 85143C24
	v_readlane_b32 s82, v3, 1                                  // 000000008FE8: D2890052 00010303
	s_and_b32 s82, s82, 0xffffff                               // 000000008FF0: 8652FF52 00FFFFFF
	s_cmp_lt_u32 s82, s66                                      // 000000008FF8: BF0A4252
	s_cselect_b32 s21, s36, s60                                // 000000008FFC: 85153C24
	s_mov_b64 exec, s[20:21]                                   // 000000009000: BEFE0114
	global_atomic_add_f32 v6, v66, s[8:9] offset:8             // 000000009004: DD348008 00084206
	s_mov_b64 exec, s[36:37]                                   // 00000000900C: BEFE0124
	v_mov_b32_e32 v6, v51                                      // 000000009010: 7E0C0333
	s_mov_b64 s[60:61], 0                                      // 000000009014: BEBC0180
	v_readlane_b32 s82, v3, 2                                  // 000000009018: D2890052 00010503
	s_and_b32 s82, s82, 0xffffff                               // 000000009020: 8652FF52 00FFFFFF
	s_cmp_lt_u32 s82, s66                                      // 000000009028: BF0A4252
	s_cselect_b32 s20, s36, s60                                // 00000000902C: 85143C24
	v_readlane_b32 s82, v3, 3                                  // 000000009030: D2890052 00010703
	s_and_b32 s82, s82, 0xffffff                               // 000000009038: 8652FF52 00FFFFFF
	s_cmp_lt_u32 s82, s66                                      // 000000009040: BF0A4252
	s_cselect_b32 s21, s36, s60                                // 000000009044: 85153C24
	s_mov_b64 exec, s[20:21]                                   // 000000009048: BEFE0114
	global_atomic_add_f32 v6, v67, s[8:9] offset:8             // 00000000904C: DD348008 00084306
	s_mov_b64 exec, s[36:37]                                   // 000000009054: BEFE0124
	v_mov_b32_e32 v6, v52                                      // 000000009058: 7E0C0334
	s_mov_b64 s[60:61], 0                                      // 00000000905C: BEBC0180
	v_readlane_b32 s82, v3, 4                                  // 000000009060: D2890052 00010903
	s_and_b32 s82, s82, 0xffffff                               // 000000009068: 8652FF52 00FFFFFF
	s_cmp_lt_u32 s82, s66                                      // 000000009070: BF0A4252
	s_cselect_b32 s20, s36, s60                                // 000000009074: 85143C24
	v_readlane_b32 s82, v3, 5                                  // 000000009078: D2890052 00010B03
	s_and_b32 s82, s82, 0xffffff                               // 000000009080: 8652FF52 00FFFFFF
	s_cmp_lt_u32 s82, s66                                      // 000000009088: BF0A4252
	s_cselect_b32 s21, s36, s60                                // 00000000908C: 85153C24
	s_mov_b64 exec, s[20:21]                                   // 000000009090: BEFE0114
	global_atomic_add_f32 v6, v70, s[8:9] offset:8             // 000000009094: DD348008 00084606
	s_mov_b64 exec, s[36:37]                                   // 00000000909C: BEFE0124
	v_mov_b32_e32 v6, v53                                      // 0000000090A0: 7E0C0335
	s_mov_b64 s[60:61], 0                                      // 0000000090A4: BEBC0180
	v_readlane_b32 s82, v3, 6                                  // 0000000090A8: D2890052 00010D03
	s_and_b32 s82, s82, 0xffffff                               // 0000000090B0: 8652FF52 00FFFFFF
	s_cmp_lt_u32 s82, s66                                      // 0000000090B8: BF0A4252
	s_cselect_b32 s20, s36, s60                                // 0000000090BC: 85143C24
	v_readlane_b32 s82, v3, 7                                  // 0000000090C0: D2890052 00010F03
	s_and_b32 s82, s82, 0xffffff                               // 0000000090C8: 8652FF52 00FFFFFF
	s_cmp_lt_u32 s82, s66                                      // 0000000090D0: BF0A4252
	s_cselect_b32 s21, s36, s60                                // 0000000090D4: 85153C24
	s_mov_b64 exec, s[20:21]                                   // 0000000090D8: BEFE0114
	global_atomic_add_f32 v6, v71, s[8:9] offset:8             // 0000000090DC: DD348008 00084706
	s_mov_b64 exec, s[36:37]                                   // 0000000090E4: BEFE0124
	v_mov_b32_e32 v6, v54                                      // 0000000090E8: 7E0C0336
	s_mov_b64 s[60:61], 0                                      // 0000000090EC: BEBC0180
	v_readlane_b32 s82, v3, 8                                  // 0000000090F0: D2890052 00011103
	s_and_b32 s82, s82, 0xffffff                               // 0000000090F8: 8652FF52 00FFFFFF
	s_cmp_lt_u32 s82, s66                                      // 000000009100: BF0A4252
	s_cselect_b32 s20, s36, s60                                // 000000009104: 85143C24
	v_readlane_b32 s82, v3, 9                                  // 000000009108: D2890052 00011303
	s_and_b32 s82, s82, 0xffffff                               // 000000009110: 8652FF52 00FFFFFF
	s_cmp_lt_u32 s82, s66                                      // 000000009118: BF0A4252
	s_cselect_b32 s21, s36, s60                                // 00000000911C: 85153C24
	s_mov_b64 exec, s[20:21]                                   // 000000009120: BEFE0114
	global_atomic_add_f32 v6, v74, s[8:9] offset:8             // 000000009124: DD348008 00084A06
	s_mov_b64 exec, s[36:37]                                   // 00000000912C: BEFE0124
	v_mov_b32_e32 v6, v55                                      // 000000009130: 7E0C0337
	s_mov_b64 s[60:61], 0                                      // 000000009134: BEBC0180
	v_readlane_b32 s82, v3, 10                                 // 000000009138: D2890052 00011503
	s_and_b32 s82, s82, 0xffffff                               // 000000009140: 8652FF52 00FFFFFF
	s_cmp_lt_u32 s82, s66                                      // 000000009148: BF0A4252
	s_cselect_b32 s20, s36, s60                                // 00000000914C: 85143C24
	v_readlane_b32 s82, v3, 11                                 // 000000009150: D2890052 00011703
	s_and_b32 s82, s82, 0xffffff                               // 000000009158: 8652FF52 00FFFFFF
	s_cmp_lt_u32 s82, s66                                      // 000000009160: BF0A4252
	s_cselect_b32 s21, s36, s60                                // 000000009164: 85153C24
	s_mov_b64 exec, s[20:21]                                   // 000000009168: BEFE0114
	global_atomic_add_f32 v6, v75, s[8:9] offset:8             // 00000000916C: DD348008 00084B06
	s_mov_b64 exec, s[36:37]                                   // 000000009174: BEFE0124
	v_mov_b32_e32 v6, v56                                      // 000000009178: 7E0C0338
	s_mov_b64 s[60:61], 0                                      // 00000000917C: BEBC0180
	v_readlane_b32 s82, v3, 12                                 // 000000009180: D2890052 00011903
	s_and_b32 s82, s82, 0xffffff                               // 000000009188: 8652FF52 00FFFFFF
	s_cmp_lt_u32 s82, s66                                      // 000000009190: BF0A4252
	s_cselect_b32 s20, s36, s60                                // 000000009194: 85143C24
	v_readlane_b32 s82, v3, 13                                 // 000000009198: D2890052 00011B03
	s_and_b32 s82, s82, 0xffffff                               // 0000000091A0: 8652FF52 00FFFFFF
	s_cmp_lt_u32 s82, s66                                      // 0000000091A8: BF0A4252
	s_cselect_b32 s21, s36, s60                                // 0000000091AC: 85153C24
	s_mov_b64 exec, s[20:21]                                   // 0000000091B0: BEFE0114
	global_atomic_add_f32 v6, v78, s[8:9] offset:8             // 0000000091B4: DD348008 00084E06
	s_mov_b64 exec, s[36:37]                                   // 0000000091BC: BEFE0124
	v_mov_b32_e32 v6, v57                                      // 0000000091C0: 7E0C0339
	s_mov_b64 s[60:61], 0                                      // 0000000091C4: BEBC0180
	v_readlane_b32 s82, v3, 14                                 // 0000000091C8: D2890052 00011D03
	s_and_b32 s82, s82, 0xffffff                               // 0000000091D0: 8652FF52 00FFFFFF
	s_cmp_lt_u32 s82, s66                                      // 0000000091D8: BF0A4252
	s_cselect_b32 s20, s36, s60                                // 0000000091DC: 85143C24
	v_readlane_b32 s82, v3, 15                                 // 0000000091E0: D2890052 00011F03
	s_and_b32 s82, s82, 0xffffff                               // 0000000091E8: 8652FF52 00FFFFFF
	s_cmp_lt_u32 s82, s66                                      // 0000000091F0: BF0A4252
	s_cselect_b32 s21, s36, s60                                // 0000000091F4: 85153C24
	s_mov_b64 exec, s[20:21]                                   // 0000000091F8: BEFE0114
	global_atomic_add_f32 v6, v79, s[8:9] offset:8             // 0000000091FC: DD348008 00084F06
	s_mov_b64 exec, s[36:37]                                   // 000000009204: BEFE0124
	v_mov_b32_e32 v6, v58                                      // 000000009208: 7E0C033A
	s_mov_b64 s[60:61], 0                                      // 00000000920C: BEBC0180
	v_readlane_b32 s82, v3, 16                                 // 000000009210: D2890052 00012103
	s_and_b32 s82, s82, 0xffffff                               // 000000009218: 8652FF52 00FFFFFF
	s_cmp_lt_u32 s82, s66                                      // 000000009220: BF0A4252
	s_cselect_b32 s20, s36, s60                                // 000000009224: 85143C24
	v_readlane_b32 s82, v3, 17                                 // 000000009228: D2890052 00012303
	s_and_b32 s82, s82, 0xffffff                               // 000000009230: 8652FF52 00FFFFFF
	s_cmp_lt_u32 s82, s66                                      // 000000009238: BF0A4252
	s_cselect_b32 s21, s36, s60                                // 00000000923C: 85153C24
	s_mov_b64 exec, s[20:21]                                   // 000000009240: BEFE0114
	global_atomic_add_f32 v6, v82, s[8:9] offset:8             // 000000009244: DD348008 00085206
	s_mov_b64 exec, s[36:37]                                   // 00000000924C: BEFE0124
	v_mov_b32_e32 v6, v59                                      // 000000009250: 7E0C033B
	s_mov_b64 s[60:61], 0                                      // 000000009254: BEBC0180
	v_readlane_b32 s82, v3, 18                                 // 000000009258: D2890052 00012503
	s_and_b32 s82, s82, 0xffffff                               // 000000009260: 8652FF52 00FFFFFF
	s_cmp_lt_u32 s82, s66                                      // 000000009268: BF0A4252
	s_cselect_b32 s20, s36, s60                                // 00000000926C: 85143C24
	v_readlane_b32 s82, v3, 19                                 // 000000009270: D2890052 00012703
	s_and_b32 s82, s82, 0xffffff                               // 000000009278: 8652FF52 00FFFFFF
	s_cmp_lt_u32 s82, s66                                      // 000000009280: BF0A4252
	s_cselect_b32 s21, s36, s60                                // 000000009284: 85153C24
	s_mov_b64 exec, s[20:21]                                   // 000000009288: BEFE0114
	global_atomic_add_f32 v6, v83, s[8:9] offset:8             // 00000000928C: DD348008 00085306
	s_mov_b64 exec, s[36:37]                                   // 000000009294: BEFE0124
	ds_write_b64 v20, v[84:85]                                 // 000000009298: D89A0000 00005414
	ds_write_b64 v20, v[88:89] offset:2176                     // 0000000092A0: D89A0880 00005814
	ds_write_b64 v20, v[92:93] offset:4352                     // 0000000092A8: D89A1100 00005C14
	ds_write_b64 v20, v[96:97] offset:6528                     // 0000000092B0: D89A1980 00006014
	ds_write_b64 v20, v[100:101] offset:8704                   // 0000000092B8: D89A2200 00006414
	s_waitcnt lgkmcnt(0)                                       // 0000000092C0: BF8CC07F
	s_barrier                                                  // 0000000092C4: BF8A0000
	ds_read_b32 v84, v21                                       // 0000000092C8: D86C0000 54000015
	ds_read_b32 v85, v21 offset:64                             // 0000000092D0: D86C0040 55000015
	ds_read_b32 v88, v21 offset:2176                           // 0000000092D8: D86C0880 58000015
	ds_read_b32 v89, v21 offset:2240                           // 0000000092E0: D86C08C0 59000015
	ds_read_b32 v92, v21 offset:4352                           // 0000000092E8: D86C1100 5C000015
	ds_read_b32 v93, v21 offset:4416                           // 0000000092F0: D86C1140 5D000015
	ds_read_b32 v96, v21 offset:6528                           // 0000000092F8: D86C1980 60000015
	ds_read_b32 v97, v21 offset:6592                           // 000000009300: D86C19C0 61000015
	ds_read_b32 v100, v21 offset:8704                          // 000000009308: D86C2200 64000015
	ds_read_b32 v101, v21 offset:8768                          // 000000009310: D86C2240 65000015
	s_mul_i32 s60, s65, 4                                      // 000000009318: 923C8441
	s_add_u32 s8, s60, s8                                      // 00000000931C: 8008083C
	s_addc_u32 s9, 0, s9                                       // 000000009320: 82090980
	s_waitcnt lgkmcnt(0)                                       // 000000009324: BF8CC07F
	v_mov_b32_e32 v7, 0                                        // 000000009328: 7E0E0280
	s_mov_b64 exec, s[36:37]                                   // 00000000932C: BEFE0124
	v_mov_b32_e32 v6, v50                                      // 000000009330: 7E0C0332
	s_mov_b64 s[60:61], 0                                      // 000000009334: BEBC0180
	v_readlane_b32 s82, v3, 0                                  // 000000009338: D2890052 00010103
	s_and_b32 s82, s82, 0xffffff                               // 000000009340: 8652FF52 00FFFFFF
	s_cmp_lt_u32 s82, s66                                      // 000000009348: BF0A4252
	s_cselect_b32 s20, s36, s60                                // 00000000934C: 85143C24
	v_readlane_b32 s82, v3, 1                                  // 000000009350: D2890052 00010303
	s_and_b32 s82, s82, 0xffffff                               // 000000009358: 8652FF52 00FFFFFF
	s_cmp_lt_u32 s82, s66                                      // 000000009360: BF0A4252
	s_cselect_b32 s21, s36, s60                                // 000000009364: 85153C24
	s_mov_b64 exec, s[20:21]                                   // 000000009368: BEFE0114
	global_atomic_add_f32 v6, v84, s[8:9]                      // 00000000936C: DD348000 00085406
	s_mov_b64 exec, s[36:37]                                   // 000000009374: BEFE0124
	v_mov_b32_e32 v6, v51                                      // 000000009378: 7E0C0333
	s_mov_b64 s[60:61], 0                                      // 00000000937C: BEBC0180
	v_readlane_b32 s82, v3, 2                                  // 000000009380: D2890052 00010503
	s_and_b32 s82, s82, 0xffffff                               // 000000009388: 8652FF52 00FFFFFF
	s_cmp_lt_u32 s82, s66                                      // 000000009390: BF0A4252
	s_cselect_b32 s20, s36, s60                                // 000000009394: 85143C24
	v_readlane_b32 s82, v3, 3                                  // 000000009398: D2890052 00010703
	s_and_b32 s82, s82, 0xffffff                               // 0000000093A0: 8652FF52 00FFFFFF
	s_cmp_lt_u32 s82, s66                                      // 0000000093A8: BF0A4252
	s_cselect_b32 s21, s36, s60                                // 0000000093AC: 85153C24
	s_mov_b64 exec, s[20:21]                                   // 0000000093B0: BEFE0114
	global_atomic_add_f32 v6, v85, s[8:9]                      // 0000000093B4: DD348000 00085506
	s_mov_b64 exec, s[36:37]                                   // 0000000093BC: BEFE0124
	v_mov_b32_e32 v6, v52                                      // 0000000093C0: 7E0C0334
	s_mov_b64 s[60:61], 0                                      // 0000000093C4: BEBC0180
	v_readlane_b32 s82, v3, 4                                  // 0000000093C8: D2890052 00010903
	s_and_b32 s82, s82, 0xffffff                               // 0000000093D0: 8652FF52 00FFFFFF
	s_cmp_lt_u32 s82, s66                                      // 0000000093D8: BF0A4252
	s_cselect_b32 s20, s36, s60                                // 0000000093DC: 85143C24
	v_readlane_b32 s82, v3, 5                                  // 0000000093E0: D2890052 00010B03
	s_and_b32 s82, s82, 0xffffff                               // 0000000093E8: 8652FF52 00FFFFFF
	s_cmp_lt_u32 s82, s66                                      // 0000000093F0: BF0A4252
	s_cselect_b32 s21, s36, s60                                // 0000000093F4: 85153C24
	s_mov_b64 exec, s[20:21]                                   // 0000000093F8: BEFE0114
	global_atomic_add_f32 v6, v88, s[8:9]                      // 0000000093FC: DD348000 00085806
	s_mov_b64 exec, s[36:37]                                   // 000000009404: BEFE0124
	v_mov_b32_e32 v6, v53                                      // 000000009408: 7E0C0335
	s_mov_b64 s[60:61], 0                                      // 00000000940C: BEBC0180
	v_readlane_b32 s82, v3, 6                                  // 000000009410: D2890052 00010D03
	s_and_b32 s82, s82, 0xffffff                               // 000000009418: 8652FF52 00FFFFFF
	s_cmp_lt_u32 s82, s66                                      // 000000009420: BF0A4252
	s_cselect_b32 s20, s36, s60                                // 000000009424: 85143C24
	v_readlane_b32 s82, v3, 7                                  // 000000009428: D2890052 00010F03
	s_and_b32 s82, s82, 0xffffff                               // 000000009430: 8652FF52 00FFFFFF
	s_cmp_lt_u32 s82, s66                                      // 000000009438: BF0A4252
	s_cselect_b32 s21, s36, s60                                // 00000000943C: 85153C24
	s_mov_b64 exec, s[20:21]                                   // 000000009440: BEFE0114
	global_atomic_add_f32 v6, v89, s[8:9]                      // 000000009444: DD348000 00085906
	s_mov_b64 exec, s[36:37]                                   // 00000000944C: BEFE0124
	v_mov_b32_e32 v6, v54                                      // 000000009450: 7E0C0336
	s_mov_b64 s[60:61], 0                                      // 000000009454: BEBC0180
	v_readlane_b32 s82, v3, 8                                  // 000000009458: D2890052 00011103
	s_and_b32 s82, s82, 0xffffff                               // 000000009460: 8652FF52 00FFFFFF
	s_cmp_lt_u32 s82, s66                                      // 000000009468: BF0A4252
	s_cselect_b32 s20, s36, s60                                // 00000000946C: 85143C24
	v_readlane_b32 s82, v3, 9                                  // 000000009470: D2890052 00011303
	s_and_b32 s82, s82, 0xffffff                               // 000000009478: 8652FF52 00FFFFFF
	s_cmp_lt_u32 s82, s66                                      // 000000009480: BF0A4252
	s_cselect_b32 s21, s36, s60                                // 000000009484: 85153C24
	s_mov_b64 exec, s[20:21]                                   // 000000009488: BEFE0114
	global_atomic_add_f32 v6, v92, s[8:9]                      // 00000000948C: DD348000 00085C06
	s_mov_b64 exec, s[36:37]                                   // 000000009494: BEFE0124
	v_mov_b32_e32 v6, v55                                      // 000000009498: 7E0C0337
	s_mov_b64 s[60:61], 0                                      // 00000000949C: BEBC0180
	v_readlane_b32 s82, v3, 10                                 // 0000000094A0: D2890052 00011503
	s_and_b32 s82, s82, 0xffffff                               // 0000000094A8: 8652FF52 00FFFFFF
	s_cmp_lt_u32 s82, s66                                      // 0000000094B0: BF0A4252
	s_cselect_b32 s20, s36, s60                                // 0000000094B4: 85143C24
	v_readlane_b32 s82, v3, 11                                 // 0000000094B8: D2890052 00011703
	s_and_b32 s82, s82, 0xffffff                               // 0000000094C0: 8652FF52 00FFFFFF
	s_cmp_lt_u32 s82, s66                                      // 0000000094C8: BF0A4252
	s_cselect_b32 s21, s36, s60                                // 0000000094CC: 85153C24
	s_mov_b64 exec, s[20:21]                                   // 0000000094D0: BEFE0114
	global_atomic_add_f32 v6, v93, s[8:9]                      // 0000000094D4: DD348000 00085D06
	s_mov_b64 exec, s[36:37]                                   // 0000000094DC: BEFE0124
	v_mov_b32_e32 v6, v56                                      // 0000000094E0: 7E0C0338
	s_mov_b64 s[60:61], 0                                      // 0000000094E4: BEBC0180
	v_readlane_b32 s82, v3, 12                                 // 0000000094E8: D2890052 00011903
	s_and_b32 s82, s82, 0xffffff                               // 0000000094F0: 8652FF52 00FFFFFF
	s_cmp_lt_u32 s82, s66                                      // 0000000094F8: BF0A4252
	s_cselect_b32 s20, s36, s60                                // 0000000094FC: 85143C24
	v_readlane_b32 s82, v3, 13                                 // 000000009500: D2890052 00011B03
	s_and_b32 s82, s82, 0xffffff                               // 000000009508: 8652FF52 00FFFFFF
	s_cmp_lt_u32 s82, s66                                      // 000000009510: BF0A4252
	s_cselect_b32 s21, s36, s60                                // 000000009514: 85153C24
	s_mov_b64 exec, s[20:21]                                   // 000000009518: BEFE0114
	global_atomic_add_f32 v6, v96, s[8:9]                      // 00000000951C: DD348000 00086006
	s_mov_b64 exec, s[36:37]                                   // 000000009524: BEFE0124
	v_mov_b32_e32 v6, v57                                      // 000000009528: 7E0C0339
	s_mov_b64 s[60:61], 0                                      // 00000000952C: BEBC0180
	v_readlane_b32 s82, v3, 14                                 // 000000009530: D2890052 00011D03
	s_and_b32 s82, s82, 0xffffff                               // 000000009538: 8652FF52 00FFFFFF
	s_cmp_lt_u32 s82, s66                                      // 000000009540: BF0A4252
	s_cselect_b32 s20, s36, s60                                // 000000009544: 85143C24
	v_readlane_b32 s82, v3, 15                                 // 000000009548: D2890052 00011F03
	s_and_b32 s82, s82, 0xffffff                               // 000000009550: 8652FF52 00FFFFFF
	s_cmp_lt_u32 s82, s66                                      // 000000009558: BF0A4252
	s_cselect_b32 s21, s36, s60                                // 00000000955C: 85153C24
	s_mov_b64 exec, s[20:21]                                   // 000000009560: BEFE0114
	global_atomic_add_f32 v6, v97, s[8:9]                      // 000000009564: DD348000 00086106
	s_mov_b64 exec, s[36:37]                                   // 00000000956C: BEFE0124
	v_mov_b32_e32 v6, v58                                      // 000000009570: 7E0C033A
	s_mov_b64 s[60:61], 0                                      // 000000009574: BEBC0180
	v_readlane_b32 s82, v3, 16                                 // 000000009578: D2890052 00012103
	s_and_b32 s82, s82, 0xffffff                               // 000000009580: 8652FF52 00FFFFFF
	s_cmp_lt_u32 s82, s66                                      // 000000009588: BF0A4252
	s_cselect_b32 s20, s36, s60                                // 00000000958C: 85143C24
	v_readlane_b32 s82, v3, 17                                 // 000000009590: D2890052 00012303
	s_and_b32 s82, s82, 0xffffff                               // 000000009598: 8652FF52 00FFFFFF
	s_cmp_lt_u32 s82, s66                                      // 0000000095A0: BF0A4252
	s_cselect_b32 s21, s36, s60                                // 0000000095A4: 85153C24
	s_mov_b64 exec, s[20:21]                                   // 0000000095A8: BEFE0114
	global_atomic_add_f32 v6, v100, s[8:9]                     // 0000000095AC: DD348000 00086406
	s_mov_b64 exec, s[36:37]                                   // 0000000095B4: BEFE0124
	v_mov_b32_e32 v6, v59                                      // 0000000095B8: 7E0C033B
	s_mov_b64 s[60:61], 0                                      // 0000000095BC: BEBC0180
	v_readlane_b32 s82, v3, 18                                 // 0000000095C0: D2890052 00012503
	s_and_b32 s82, s82, 0xffffff                               // 0000000095C8: 8652FF52 00FFFFFF
	s_cmp_lt_u32 s82, s66                                      // 0000000095D0: BF0A4252
	s_cselect_b32 s20, s36, s60                                // 0000000095D4: 85143C24
	v_readlane_b32 s82, v3, 19                                 // 0000000095D8: D2890052 00012703
	s_and_b32 s82, s82, 0xffffff                               // 0000000095E0: 8652FF52 00FFFFFF
	s_cmp_lt_u32 s82, s66                                      // 0000000095E8: BF0A4252
	s_cselect_b32 s21, s36, s60                                // 0000000095EC: 85153C24
	s_mov_b64 exec, s[20:21]                                   // 0000000095F0: BEFE0114
	global_atomic_add_f32 v6, v101, s[8:9]                     // 0000000095F4: DD348000 00086506
	s_mov_b64 exec, s[36:37]                                   // 0000000095FC: BEFE0124
	ds_write_b64 v20, v[86:87]                                 // 000000009600: D89A0000 00005614
	ds_write_b64 v20, v[90:91] offset:2176                     // 000000009608: D89A0880 00005A14
	ds_write_b64 v20, v[94:95] offset:4352                     // 000000009610: D89A1100 00005E14
	ds_write_b64 v20, v[98:99] offset:6528                     // 000000009618: D89A1980 00006214
	ds_write_b64 v20, v[102:103] offset:8704                   // 000000009620: D89A2200 00006614
	s_waitcnt lgkmcnt(0)                                       // 000000009628: BF8CC07F
	s_barrier                                                  // 00000000962C: BF8A0000
	ds_read_b32 v86, v21                                       // 000000009630: D86C0000 56000015
	ds_read_b32 v87, v21 offset:64                             // 000000009638: D86C0040 57000015
	ds_read_b32 v90, v21 offset:2176                           // 000000009640: D86C0880 5A000015
	ds_read_b32 v91, v21 offset:2240                           // 000000009648: D86C08C0 5B000015
	ds_read_b32 v94, v21 offset:4352                           // 000000009650: D86C1100 5E000015
	ds_read_b32 v95, v21 offset:4416                           // 000000009658: D86C1140 5F000015
	ds_read_b32 v98, v21 offset:6528                           // 000000009660: D86C1980 62000015
	ds_read_b32 v99, v21 offset:6592                           // 000000009668: D86C19C0 63000015
	ds_read_b32 v102, v21 offset:8704                          // 000000009670: D86C2200 66000015
	ds_read_b32 v103, v21 offset:8768                          // 000000009678: D86C2240 67000015
	s_waitcnt lgkmcnt(0)                                       // 000000009680: BF8CC07F
	v_mov_b32_e32 v7, 0                                        // 000000009684: 7E0E0280
	s_mov_b64 exec, s[36:37]                                   // 000000009688: BEFE0124
	v_mov_b32_e32 v6, v50                                      // 00000000968C: 7E0C0332
	s_mov_b64 s[60:61], 0                                      // 000000009690: BEBC0180
	v_readlane_b32 s82, v3, 0                                  // 000000009694: D2890052 00010103
	s_and_b32 s82, s82, 0xffffff                               // 00000000969C: 8652FF52 00FFFFFF
	s_cmp_lt_u32 s82, s66                                      // 0000000096A4: BF0A4252
	s_cselect_b32 s20, s36, s60                                // 0000000096A8: 85143C24
	v_readlane_b32 s82, v3, 1                                  // 0000000096AC: D2890052 00010303
	s_and_b32 s82, s82, 0xffffff                               // 0000000096B4: 8652FF52 00FFFFFF
	s_cmp_lt_u32 s82, s66                                      // 0000000096BC: BF0A4252
	s_cselect_b32 s21, s36, s60                                // 0000000096C0: 85153C24
	s_mov_b64 exec, s[20:21]                                   // 0000000096C4: BEFE0114
	global_atomic_add_f32 v6, v86, s[8:9] offset:8             // 0000000096C8: DD348008 00085606
	s_mov_b64 exec, s[36:37]                                   // 0000000096D0: BEFE0124
	v_mov_b32_e32 v6, v51                                      // 0000000096D4: 7E0C0333
	s_mov_b64 s[60:61], 0                                      // 0000000096D8: BEBC0180
	v_readlane_b32 s82, v3, 2                                  // 0000000096DC: D2890052 00010503
	s_and_b32 s82, s82, 0xffffff                               // 0000000096E4: 8652FF52 00FFFFFF
	s_cmp_lt_u32 s82, s66                                      // 0000000096EC: BF0A4252
	s_cselect_b32 s20, s36, s60                                // 0000000096F0: 85143C24
	v_readlane_b32 s82, v3, 3                                  // 0000000096F4: D2890052 00010703
	s_and_b32 s82, s82, 0xffffff                               // 0000000096FC: 8652FF52 00FFFFFF
	s_cmp_lt_u32 s82, s66                                      // 000000009704: BF0A4252
	s_cselect_b32 s21, s36, s60                                // 000000009708: 85153C24
	s_mov_b64 exec, s[20:21]                                   // 00000000970C: BEFE0114
	global_atomic_add_f32 v6, v87, s[8:9] offset:8             // 000000009710: DD348008 00085706
	s_mov_b64 exec, s[36:37]                                   // 000000009718: BEFE0124
	v_mov_b32_e32 v6, v52                                      // 00000000971C: 7E0C0334
	s_mov_b64 s[60:61], 0                                      // 000000009720: BEBC0180
	v_readlane_b32 s82, v3, 4                                  // 000000009724: D2890052 00010903
	s_and_b32 s82, s82, 0xffffff                               // 00000000972C: 8652FF52 00FFFFFF
	s_cmp_lt_u32 s82, s66                                      // 000000009734: BF0A4252
	s_cselect_b32 s20, s36, s60                                // 000000009738: 85143C24
	v_readlane_b32 s82, v3, 5                                  // 00000000973C: D2890052 00010B03
	s_and_b32 s82, s82, 0xffffff                               // 000000009744: 8652FF52 00FFFFFF
	s_cmp_lt_u32 s82, s66                                      // 00000000974C: BF0A4252
	s_cselect_b32 s21, s36, s60                                // 000000009750: 85153C24
	s_mov_b64 exec, s[20:21]                                   // 000000009754: BEFE0114
	global_atomic_add_f32 v6, v90, s[8:9] offset:8             // 000000009758: DD348008 00085A06
	s_mov_b64 exec, s[36:37]                                   // 000000009760: BEFE0124
	v_mov_b32_e32 v6, v53                                      // 000000009764: 7E0C0335
	s_mov_b64 s[60:61], 0                                      // 000000009768: BEBC0180
	v_readlane_b32 s82, v3, 6                                  // 00000000976C: D2890052 00010D03
	s_and_b32 s82, s82, 0xffffff                               // 000000009774: 8652FF52 00FFFFFF
	s_cmp_lt_u32 s82, s66                                      // 00000000977C: BF0A4252
	s_cselect_b32 s20, s36, s60                                // 000000009780: 85143C24
	v_readlane_b32 s82, v3, 7                                  // 000000009784: D2890052 00010F03
	s_and_b32 s82, s82, 0xffffff                               // 00000000978C: 8652FF52 00FFFFFF
	s_cmp_lt_u32 s82, s66                                      // 000000009794: BF0A4252
	s_cselect_b32 s21, s36, s60                                // 000000009798: 85153C24
	s_mov_b64 exec, s[20:21]                                   // 00000000979C: BEFE0114
	global_atomic_add_f32 v6, v91, s[8:9] offset:8             // 0000000097A0: DD348008 00085B06
	s_mov_b64 exec, s[36:37]                                   // 0000000097A8: BEFE0124
	v_mov_b32_e32 v6, v54                                      // 0000000097AC: 7E0C0336
	s_mov_b64 s[60:61], 0                                      // 0000000097B0: BEBC0180
	v_readlane_b32 s82, v3, 8                                  // 0000000097B4: D2890052 00011103
	s_and_b32 s82, s82, 0xffffff                               // 0000000097BC: 8652FF52 00FFFFFF
	s_cmp_lt_u32 s82, s66                                      // 0000000097C4: BF0A4252
	s_cselect_b32 s20, s36, s60                                // 0000000097C8: 85143C24
	v_readlane_b32 s82, v3, 9                                  // 0000000097CC: D2890052 00011303
	s_and_b32 s82, s82, 0xffffff                               // 0000000097D4: 8652FF52 00FFFFFF
	s_cmp_lt_u32 s82, s66                                      // 0000000097DC: BF0A4252
	s_cselect_b32 s21, s36, s60                                // 0000000097E0: 85153C24
	s_mov_b64 exec, s[20:21]                                   // 0000000097E4: BEFE0114
	global_atomic_add_f32 v6, v94, s[8:9] offset:8             // 0000000097E8: DD348008 00085E06
	s_mov_b64 exec, s[36:37]                                   // 0000000097F0: BEFE0124
	v_mov_b32_e32 v6, v55                                      // 0000000097F4: 7E0C0337
	s_mov_b64 s[60:61], 0                                      // 0000000097F8: BEBC0180
	v_readlane_b32 s82, v3, 10                                 // 0000000097FC: D2890052 00011503
	s_and_b32 s82, s82, 0xffffff                               // 000000009804: 8652FF52 00FFFFFF
	s_cmp_lt_u32 s82, s66                                      // 00000000980C: BF0A4252
	s_cselect_b32 s20, s36, s60                                // 000000009810: 85143C24
	v_readlane_b32 s82, v3, 11                                 // 000000009814: D2890052 00011703
	s_and_b32 s82, s82, 0xffffff                               // 00000000981C: 8652FF52 00FFFFFF
	s_cmp_lt_u32 s82, s66                                      // 000000009824: BF0A4252
	s_cselect_b32 s21, s36, s60                                // 000000009828: 85153C24
	s_mov_b64 exec, s[20:21]                                   // 00000000982C: BEFE0114
	global_atomic_add_f32 v6, v95, s[8:9] offset:8             // 000000009830: DD348008 00085F06
	s_mov_b64 exec, s[36:37]                                   // 000000009838: BEFE0124
	v_mov_b32_e32 v6, v56                                      // 00000000983C: 7E0C0338
	s_mov_b64 s[60:61], 0                                      // 000000009840: BEBC0180
	v_readlane_b32 s82, v3, 12                                 // 000000009844: D2890052 00011903
	s_and_b32 s82, s82, 0xffffff                               // 00000000984C: 8652FF52 00FFFFFF
	s_cmp_lt_u32 s82, s66                                      // 000000009854: BF0A4252
	s_cselect_b32 s20, s36, s60                                // 000000009858: 85143C24
	v_readlane_b32 s82, v3, 13                                 // 00000000985C: D2890052 00011B03
	s_and_b32 s82, s82, 0xffffff                               // 000000009864: 8652FF52 00FFFFFF
	s_cmp_lt_u32 s82, s66                                      // 00000000986C: BF0A4252
	s_cselect_b32 s21, s36, s60                                // 000000009870: 85153C24
	s_mov_b64 exec, s[20:21]                                   // 000000009874: BEFE0114
	global_atomic_add_f32 v6, v98, s[8:9] offset:8             // 000000009878: DD348008 00086206
	s_mov_b64 exec, s[36:37]                                   // 000000009880: BEFE0124
	v_mov_b32_e32 v6, v57                                      // 000000009884: 7E0C0339
	s_mov_b64 s[60:61], 0                                      // 000000009888: BEBC0180
	v_readlane_b32 s82, v3, 14                                 // 00000000988C: D2890052 00011D03
	s_and_b32 s82, s82, 0xffffff                               // 000000009894: 8652FF52 00FFFFFF
	s_cmp_lt_u32 s82, s66                                      // 00000000989C: BF0A4252
	s_cselect_b32 s20, s36, s60                                // 0000000098A0: 85143C24
	v_readlane_b32 s82, v3, 15                                 // 0000000098A4: D2890052 00011F03
	s_and_b32 s82, s82, 0xffffff                               // 0000000098AC: 8652FF52 00FFFFFF
	s_cmp_lt_u32 s82, s66                                      // 0000000098B4: BF0A4252
	s_cselect_b32 s21, s36, s60                                // 0000000098B8: 85153C24
	s_mov_b64 exec, s[20:21]                                   // 0000000098BC: BEFE0114
	global_atomic_add_f32 v6, v99, s[8:9] offset:8             // 0000000098C0: DD348008 00086306
	s_mov_b64 exec, s[36:37]                                   // 0000000098C8: BEFE0124
	v_mov_b32_e32 v6, v58                                      // 0000000098CC: 7E0C033A
	s_mov_b64 s[60:61], 0                                      // 0000000098D0: BEBC0180
	v_readlane_b32 s82, v3, 16                                 // 0000000098D4: D2890052 00012103
	s_and_b32 s82, s82, 0xffffff                               // 0000000098DC: 8652FF52 00FFFFFF
	s_cmp_lt_u32 s82, s66                                      // 0000000098E4: BF0A4252
	s_cselect_b32 s20, s36, s60                                // 0000000098E8: 85143C24
	v_readlane_b32 s82, v3, 17                                 // 0000000098EC: D2890052 00012303
	s_and_b32 s82, s82, 0xffffff                               // 0000000098F4: 8652FF52 00FFFFFF
	s_cmp_lt_u32 s82, s66                                      // 0000000098FC: BF0A4252
	s_cselect_b32 s21, s36, s60                                // 000000009900: 85153C24
	s_mov_b64 exec, s[20:21]                                   // 000000009904: BEFE0114
	global_atomic_add_f32 v6, v102, s[8:9] offset:8            // 000000009908: DD348008 00086606
	s_mov_b64 exec, s[36:37]                                   // 000000009910: BEFE0124
	v_mov_b32_e32 v6, v59                                      // 000000009914: 7E0C033B
	s_mov_b64 s[60:61], 0                                      // 000000009918: BEBC0180
	v_readlane_b32 s82, v3, 18                                 // 00000000991C: D2890052 00012503
	s_and_b32 s82, s82, 0xffffff                               // 000000009924: 8652FF52 00FFFFFF
	s_cmp_lt_u32 s82, s66                                      // 00000000992C: BF0A4252
	s_cselect_b32 s20, s36, s60                                // 000000009930: 85143C24
	v_readlane_b32 s82, v3, 19                                 // 000000009934: D2890052 00012703
	s_and_b32 s82, s82, 0xffffff                               // 00000000993C: 8652FF52 00FFFFFF
	s_cmp_lt_u32 s82, s66                                      // 000000009944: BF0A4252
	s_cselect_b32 s21, s36, s60                                // 000000009948: 85153C24
	s_mov_b64 exec, s[20:21]                                   // 00000000994C: BEFE0114
	global_atomic_add_f32 v6, v103, s[8:9] offset:8            // 000000009950: DD348008 00086706
	s_mov_b64 exec, s[36:37]                                   // 000000009958: BEFE0124
	s_branch label_1BDB                                        // 00000000995C: BF820000

0000000000009960 <label_1BDB>:
	s_waitcnt vmcnt(0) expcnt(0) lgkmcnt(0)                    // 000000009960: BF8C0000
	s_endpgm                                                   // 000000009964: BF810000
